;; amdgpu-corpus repo=ROCm/rocFFT kind=compiled arch=gfx950 opt=O3
	.text
	.amdgcn_target "amdgcn-amd-amdhsa--gfx950"
	.amdhsa_code_object_version 6
	.protected	bluestein_single_back_len672_dim1_dp_op_CI_CI ; -- Begin function bluestein_single_back_len672_dim1_dp_op_CI_CI
	.globl	bluestein_single_back_len672_dim1_dp_op_CI_CI
	.p2align	8
	.type	bluestein_single_back_len672_dim1_dp_op_CI_CI,@function
bluestein_single_back_len672_dim1_dp_op_CI_CI: ; @bluestein_single_back_len672_dim1_dp_op_CI_CI
; %bb.0:
	s_load_dwordx4 s[12:15], s[0:1], 0x28
	v_mul_u32_u24_e32 v1, 0x493, v0
	v_mov_b32_e32 v179, 0
	v_add_u32_sdwa v180, s2, v1 dst_sel:DWORD dst_unused:UNUSED_PAD src0_sel:DWORD src1_sel:WORD_1
	v_mov_b32_e32 v181, v179
	s_waitcnt lgkmcnt(0)
	v_cmp_gt_u64_e32 vcc, s[12:13], v[180:181]
	s_and_saveexec_b64 s[2:3], vcc
	s_cbranch_execz .LBB0_10
; %bb.1:
	s_load_dwordx4 s[4:7], s[0:1], 0x18
	s_load_dwordx4 s[8:11], s[0:1], 0x0
	v_mov_b32_e32 v2, s14
	v_mov_b32_e32 v3, s15
	;; [unrolled: 1-line block ×3, first 2 shown]
	s_waitcnt lgkmcnt(0)
	s_load_dwordx4 s[12:15], s[4:5], 0x0
	v_mul_lo_u16_sdwa v1, v1, v4 dst_sel:DWORD dst_unused:UNUSED_PAD src0_sel:WORD_1 src1_sel:DWORD
	v_sub_u16_e32 v178, v0, v1
	v_mov_b32_e32 v92, 0x1500
	v_lshlrev_b32_e32 v176, 4, v178
	s_waitcnt lgkmcnt(0)
	v_mad_u64_u32 v[0:1], s[2:3], s14, v180, 0
	v_mov_b32_e32 v4, v1
	v_mad_u64_u32 v[4:5], s[2:3], s15, v180, v[4:5]
	v_mov_b32_e32 v1, v4
	v_mad_u64_u32 v[4:5], s[2:3], s12, v178, 0
	v_mov_b32_e32 v6, v5
	v_mad_u64_u32 v[6:7], s[2:3], s13, v178, v[6:7]
	v_mov_b32_e32 v5, v6
	v_lshl_add_u64 v[6:7], v[0:1], 4, v[2:3]
	v_lshl_add_u64 v[0:1], v[4:5], 4, v[6:7]
	v_mov_b32_e32 v177, v179
	v_mad_u64_u32 v[4:5], s[2:3], s12, v92, v[0:1]
	v_lshl_add_u64 v[8:9], s[8:9], 0, v[176:177]
	s_mul_i32 s2, s13, 0x1500
	s_movk_i32 s3, 0x1000
	v_add_u32_e32 v5, s2, v5
	v_add_co_u32_e32 v28, vcc, s3, v8
	v_mov_b32_e32 v18, 0xffffee80
	s_mul_i32 s3, s13, 0xffffee80
	v_mad_u64_u32 v[10:11], s[4:5], s12, v18, v[4:5]
	s_sub_i32 s3, s3, s12
	v_addc_co_u32_e32 v29, vcc, 0, v9, vcc
	v_add_u32_e32 v11, s3, v11
	global_load_dwordx4 v[48:51], v[0:1], off
	v_or_b32_e32 v14, 0x1c0, v178
	global_load_dwordx4 v[0:3], v[28:29], off offset:1280
	global_load_dwordx4 v[56:59], v[4:5], off
	global_load_dwordx4 v[52:55], v[10:11], off
	global_load_dwordx4 v[44:47], v176, s[8:9]
	global_load_dwordx4 v[24:27], v176, s[8:9] offset:896
	v_mad_u64_u32 v[4:5], s[4:5], s12, v92, v[10:11]
	v_add_u32_e32 v5, s2, v5
	v_mad_u64_u32 v[10:11], s[4:5], s12, v18, v[4:5]
	global_load_dwordx4 v[40:43], v[28:29], off offset:2176
	v_add_u32_e32 v11, s3, v11
	global_load_dwordx4 v[60:63], v[4:5], off
	global_load_dwordx4 v[64:67], v[10:11], off
	v_mad_u64_u32 v[4:5], s[4:5], s12, v14, 0
	v_mov_b32_e32 v12, v5
	v_mad_u64_u32 v[12:13], s[4:5], s13, v14, v[12:13]
	v_mov_b32_e32 v5, v12
	v_lshl_add_u64 v[4:5], v[4:5], 4, v[6:7]
	global_load_dwordx4 v[68:71], v[4:5], off
	v_lshlrev_b32_e32 v4, 4, v14
	v_accvgpr_write_b32 a0, v14
	v_accvgpr_write_b32 a20, v4
	global_load_dwordx4 v[12:15], v4, s[8:9]
	global_load_dwordx4 v[36:39], v176, s[8:9] offset:1792
	v_mov_b32_e32 v4, 0x380
	v_mad_u64_u32 v[4:5], s[4:5], s12, v4, v[10:11]
	s_mul_i32 s4, s13, 0x380
	s_nop 0
	v_add_u32_e32 v5, s4, v5
	global_load_dwordx4 v[72:75], v[4:5], off
	global_load_dwordx4 v[20:23], v176, s[8:9] offset:2688
	v_mad_u64_u32 v[4:5], s[4:5], s12, v92, v[4:5]
	v_add_u32_e32 v5, s2, v5
	v_mad_u64_u32 v[10:11], s[4:5], s12, v18, v[4:5]
	v_add_u32_e32 v11, s3, v11
	global_load_dwordx4 v[76:79], v[4:5], off
	global_load_dwordx4 v[32:35], v[28:29], off offset:3968
	v_mad_u64_u32 v[16:17], s[4:5], s12, v92, v[10:11]
	s_movk_i32 s4, 0x2000
	global_load_dwordx4 v[80:83], v[10:11], off
	global_load_dwordx4 v[4:7], v176, s[8:9] offset:3584
	v_add_co_u32_e32 v96, vcc, s4, v8
	v_add_u32_e32 v17, s2, v17
	s_nop 0
	v_addc_co_u32_e32 v97, vcc, 0, v9, vcc
	global_load_dwordx4 v[84:87], v[16:17], off
	global_load_dwordx4 v[8:11], v[96:97], off offset:768
	v_mad_u64_u32 v[30:31], s[4:5], s12, v18, v[16:17]
	v_add_u32_e32 v31, s3, v31
	global_load_dwordx4 v[88:91], v[30:31], off
	global_load_dwordx4 v[16:19], v[28:29], off offset:384
	v_mad_u64_u32 v[98:99], s[4:5], s12, v92, v[30:31]
	v_add_u32_e32 v99, s2, v99
	global_load_dwordx4 v[92:95], v[98:99], off
	global_load_dwordx4 v[28:31], v[96:97], off offset:1664
	s_load_dwordx4 s[4:7], s[6:7], 0x0
	v_lshl_add_u64 v[186:187], v[178:179], 0, 56
	v_lshlrev_b32_e32 v179, 5, v178
	v_add_u32_e32 v105, 0x70, v178
	v_add_u32_e32 v104, 0xa8, v178
	s_movk_i32 s2, 0x7c
	v_and_b32_e32 v130, 15, v178
	v_and_b32_e32 v131, 15, v186
	;; [unrolled: 1-line block ×3, first 2 shown]
	s_movk_i32 s12, 0x60
	v_and_b32_e32 v154, 31, v186
	v_and_b32_e32 v155, 31, v105
	;; [unrolled: 1-line block ×3, first 2 shown]
	s_mov_b32 s15, 0xbfebb67a
	v_cmp_gt_u16_e32 vcc, 40, v178
                                        ; implicit-def: $vgpr164_vgpr165
	s_waitcnt vmcnt(19)
	v_mul_f64 v[96:97], v[50:51], v[46:47]
	v_fmac_f64_e32 v[96:97], v[48:49], v[44:45]
	v_mul_f64 v[48:49], v[48:49], v[46:47]
	v_fma_f64 v[98:99], v[50:51], v[44:45], -v[48:49]
	v_mul_f64 v[48:49], v[58:59], v[2:3]
	v_mul_f64 v[50:51], v[56:57], v[2:3]
	v_fmac_f64_e32 v[48:49], v[56:57], v[0:1]
	v_fma_f64 v[50:51], v[58:59], v[0:1], -v[50:51]
	ds_write_b128 v176, v[48:51] offset:5376
	s_waitcnt vmcnt(18)
	v_mul_f64 v[48:49], v[54:55], v[26:27]
	v_mul_f64 v[50:51], v[52:53], v[26:27]
	v_fmac_f64_e32 v[48:49], v[52:53], v[24:25]
	v_fma_f64 v[50:51], v[54:55], v[24:25], -v[50:51]
	ds_write_b128 v176, v[48:51] offset:896
	s_waitcnt vmcnt(16)
	v_mul_f64 v[48:49], v[62:63], v[42:43]
	v_mul_f64 v[50:51], v[60:61], v[42:43]
	v_fmac_f64_e32 v[48:49], v[60:61], v[40:41]
	v_fma_f64 v[50:51], v[62:63], v[40:41], -v[50:51]
	ds_write_b128 v176, v[48:51] offset:6272
	ds_write_b128 v176, v[96:99]
	s_waitcnt vmcnt(12)
	v_mul_f64 v[48:49], v[66:67], v[38:39]
	v_mul_f64 v[50:51], v[64:65], v[38:39]
	v_fmac_f64_e32 v[48:49], v[64:65], v[36:37]
	v_fma_f64 v[50:51], v[66:67], v[36:37], -v[50:51]
	ds_write_b128 v176, v[48:51] offset:1792
	v_mul_f64 v[48:49], v[70:71], v[14:15]
	v_mul_f64 v[50:51], v[68:69], v[14:15]
	v_fmac_f64_e32 v[48:49], v[68:69], v[12:13]
	v_fma_f64 v[50:51], v[70:71], v[12:13], -v[50:51]
	ds_write_b128 v176, v[48:51] offset:7168
	s_waitcnt vmcnt(10)
	v_mul_f64 v[48:49], v[74:75], v[22:23]
	v_mul_f64 v[50:51], v[72:73], v[22:23]
	v_fmac_f64_e32 v[48:49], v[72:73], v[20:21]
	v_fma_f64 v[50:51], v[74:75], v[20:21], -v[50:51]
	ds_write_b128 v176, v[48:51] offset:2688
	s_waitcnt vmcnt(8)
	;; [unrolled: 6-line block ×6, first 2 shown]
	v_mul_f64 v[48:49], v[94:95], v[30:31]
	v_mul_f64 v[50:51], v[92:93], v[30:31]
	v_fmac_f64_e32 v[48:49], v[92:93], v[28:29]
	v_fma_f64 v[50:51], v[94:95], v[28:29], -v[50:51]
	ds_write_b128 v176, v[48:51] offset:9856
	s_waitcnt lgkmcnt(0)
	; wave barrier
	s_waitcnt lgkmcnt(0)
	ds_read_b128 v[48:51], v176
	ds_read_b128 v[52:55], v176 offset:896
	ds_read_b128 v[56:59], v176 offset:5376
	;; [unrolled: 1-line block ×11, first 2 shown]
	s_waitcnt lgkmcnt(9)
	v_add_f64 v[56:57], v[48:49], -v[56:57]
	v_add_f64 v[58:59], v[50:51], -v[58:59]
	v_fma_f64 v[48:49], v[48:49], 2.0, -v[56:57]
	v_fma_f64 v[50:51], v[50:51], 2.0, -v[58:59]
	s_waitcnt lgkmcnt(8)
	v_add_f64 v[60:61], v[52:53], -v[60:61]
	v_add_f64 v[62:63], v[54:55], -v[62:63]
	v_fma_f64 v[52:53], v[52:53], 2.0, -v[60:61]
	v_fma_f64 v[54:55], v[54:55], 2.0, -v[62:63]
	s_waitcnt lgkmcnt(0)
	; wave barrier
	s_waitcnt lgkmcnt(0)
	ds_write_b128 v179, v[48:51]
	ds_write_b128 v179, v[56:59] offset:16
	v_lshlrev_b32_e32 v48, 5, v186
	v_add_f64 v[78:79], v[66:67], -v[78:79]
	v_add_f64 v[80:81], v[68:69], -v[80:81]
	ds_write_b128 v48, v[52:55]
	v_accvgpr_write_b32 a1, v48
	ds_write_b128 v48, v[60:63] offset:16
	v_lshlrev_b32_e32 v48, 5, v105
	v_lshlrev_b32_e32 v72, 1, v178
	v_fma_f64 v[66:67], v[66:67], 2.0, -v[78:79]
	v_fma_f64 v[68:69], v[68:69], 2.0, -v[80:81]
	v_add_f64 v[82:83], v[74:75], -v[82:83]
	v_add_f64 v[84:85], v[76:77], -v[84:85]
	;; [unrolled: 1-line block ×4, first 2 shown]
	v_accvgpr_write_b32 a2, v48
	ds_write_b128 v48, v[78:81] offset:16
	v_lshlrev_b32_e32 v48, 5, v104
	v_add_u32_e32 v64, 0x118, v178
	v_fma_f64 v[74:75], v[74:75], 2.0, -v[82:83]
	v_fma_f64 v[76:77], v[76:77], 2.0, -v[84:85]
	;; [unrolled: 1-line block ×4, first 2 shown]
	ds_write_b128 v179, v[66:69] offset:3584
	v_accvgpr_write_b32 a3, v48
	ds_write_b128 v48, v[82:85] offset:16
	v_add_u32_e32 v73, 0x1c0, v72
	v_lshlrev_b32_e32 v48, 4, v72
	v_add_f64 v[98:99], v[90:91], -v[98:99]
	v_add_f64 v[100:101], v[92:93], -v[100:101]
	ds_write_b128 v179, v[74:77] offset:5376
	v_lshlrev_b32_e32 v49, 4, v73
	ds_write_b128 v48, v[86:89] offset:7168
	v_lshlrev_b32_e32 v48, 5, v64
	v_and_b32_e32 v65, 1, v178
	v_fma_f64 v[90:91], v[90:91], 2.0, -v[98:99]
	v_fma_f64 v[92:93], v[92:93], 2.0, -v[100:101]
	ds_write_b128 v49, v[94:97] offset:16
	v_accvgpr_write_b32 a5, v48
	ds_write_b128 v48, v[98:101] offset:16
	v_lshlrev_b32_e32 v48, 4, v65
	v_accvgpr_write_b32 a4, v49
	ds_write_b128 v179, v[90:93] offset:8960
	s_waitcnt lgkmcnt(0)
	; wave barrier
	s_waitcnt lgkmcnt(0)
	global_load_dwordx4 v[48:51], v48, s[10:11]
	ds_read_b128 v[52:55], v176
	ds_read_b128 v[56:59], v176 offset:896
	ds_read_b128 v[60:63], v176 offset:5376
	;; [unrolled: 1-line block ×9, first 2 shown]
	v_and_b32_e32 v132, 15, v64
	s_waitcnt vmcnt(0) lgkmcnt(7)
	v_mul_f64 v[70:71], v[62:63], v[50:51]
	v_fma_f64 v[70:71], v[60:61], v[48:49], -v[70:71]
	v_mul_f64 v[98:99], v[60:61], v[50:51]
	s_waitcnt lgkmcnt(6)
	v_mul_f64 v[60:61], v[68:69], v[50:51]
	v_fma_f64 v[100:101], v[66:67], v[48:49], -v[60:61]
	s_waitcnt lgkmcnt(3)
	v_mul_f64 v[60:61], v[84:85], v[50:51]
	v_mul_f64 v[108:109], v[82:83], v[50:51]
	v_fma_f64 v[106:107], v[82:83], v[48:49], -v[60:61]
	v_fmac_f64_e32 v[108:109], v[84:85], v[48:49]
	s_waitcnt lgkmcnt(2)
	v_mul_f64 v[60:61], v[88:89], v[50:51]
	v_mul_f64 v[112:113], v[86:87], v[50:51]
	v_add_f64 v[82:83], v[74:75], -v[106:107]
	v_add_f64 v[84:85], v[76:77], -v[108:109]
	v_fma_f64 v[110:111], v[86:87], v[48:49], -v[60:61]
	v_fmac_f64_e32 v[112:113], v[88:89], v[48:49]
	v_fma_f64 v[86:87], v[74:75], 2.0, -v[82:83]
	v_fma_f64 v[88:89], v[76:77], 2.0, -v[84:85]
	ds_read_b128 v[74:77], v176 offset:3584
	s_waitcnt lgkmcnt(2)
	v_mul_f64 v[60:61], v[92:93], v[50:51]
	v_mul_f64 v[116:117], v[90:91], v[50:51]
	v_fmac_f64_e32 v[98:99], v[62:63], v[48:49]
	v_fma_f64 v[114:115], v[90:91], v[48:49], -v[60:61]
	v_fmac_f64_e32 v[116:117], v[92:93], v[48:49]
	s_waitcnt lgkmcnt(1)
	v_mul_f64 v[60:61], v[96:97], v[50:51]
	v_mul_f64 v[120:121], v[94:95], v[50:51]
	;; [unrolled: 1-line block ×3, first 2 shown]
	v_fma_f64 v[118:119], v[94:95], v[48:49], -v[60:61]
	v_fmac_f64_e32 v[120:121], v[96:97], v[48:49]
	ds_read_b128 v[94:97], v176 offset:4480
	v_add_f64 v[60:61], v[52:53], -v[70:71]
	v_add_f64 v[62:63], v[54:55], -v[98:99]
	;; [unrolled: 1-line block ×3, first 2 shown]
	s_waitcnt lgkmcnt(1)
	v_add_f64 v[100:101], v[76:77], -v[116:117]
	v_and_or_b32 v70, v72, s2, v65
	v_fmac_f64_e32 v[102:103], v[68:69], v[48:49]
	v_fma_f64 v[52:53], v[52:53], 2.0, -v[60:61]
	v_fma_f64 v[54:55], v[54:55], 2.0, -v[62:63]
	v_fma_f64 v[108:109], v[76:77], 2.0, -v[100:101]
	v_lshlrev_b32_e32 v76, 1, v186
	v_lshlrev_b32_e32 v70, 4, v70
	s_movk_i32 s2, 0xfc
	v_add_f64 v[68:69], v[58:59], -v[102:103]
	s_waitcnt lgkmcnt(0)
	; wave barrier
	s_waitcnt lgkmcnt(0)
	ds_write_b128 v70, v[52:55]
	v_and_or_b32 v52, v76, s2, v65
	v_fma_f64 v[56:57], v[56:57], 2.0, -v[66:67]
	v_fma_f64 v[58:59], v[58:59], 2.0, -v[68:69]
	v_lshlrev_b32_e32 v77, 1, v105
	v_lshlrev_b32_e32 v52, 4, v52
	s_movk_i32 s2, 0x1fc
	v_add_f64 v[98:99], v[74:75], -v[114:115]
	ds_write_b128 v70, v[60:63] offset:32
	ds_write_b128 v52, v[56:59]
	v_accvgpr_write_b32 a7, v52
	ds_write_b128 v52, v[66:69] offset:32
	v_and_or_b32 v52, v77, s2, v65
	v_fma_f64 v[106:107], v[74:75], 2.0, -v[98:99]
	v_lshlrev_b32_e32 v75, 1, v104
	v_lshlrev_b32_e32 v52, 4, v52
	v_add_f64 v[90:91], v[78:79], -v[110:111]
	v_add_f64 v[92:93], v[80:81], -v[112:113]
	ds_write_b128 v52, v[86:89]
	v_accvgpr_write_b32 a8, v52
	ds_write_b128 v52, v[82:85] offset:32
	v_and_or_b32 v52, v75, s2, v65
	v_fma_f64 v[78:79], v[78:79], 2.0, -v[90:91]
	v_fma_f64 v[80:81], v[80:81], 2.0, -v[92:93]
	v_lshlrev_b32_e32 v52, 4, v52
	s_movk_i32 s2, 0x3fc
	ds_write_b128 v52, v[78:81]
	v_accvgpr_write_b32 a9, v52
	ds_write_b128 v52, v[90:93] offset:32
	v_and_or_b32 v52, v73, s2, v65
	v_lshlrev_b32_e32 v74, 1, v64
	v_lshlrev_b32_e32 v52, 4, v52
	s_movk_i32 s2, 0x2fc
	v_add_f64 v[110:111], v[94:95], -v[118:119]
	v_add_f64 v[112:113], v[96:97], -v[120:121]
	ds_write_b128 v52, v[106:109]
	v_accvgpr_write_b32 a10, v52
	ds_write_b128 v52, v[98:101] offset:32
	v_and_or_b32 v52, v74, s2, v65
	v_fma_f64 v[94:95], v[94:95], 2.0, -v[110:111]
	v_fma_f64 v[96:97], v[96:97], 2.0, -v[112:113]
	v_lshlrev_b32_e32 v52, 4, v52
	v_and_b32_e32 v65, 3, v178
	ds_write_b128 v52, v[94:97]
	v_accvgpr_write_b32 a11, v52
	ds_write_b128 v52, v[110:113] offset:32
	v_lshlrev_b32_e32 v52, 4, v65
	s_waitcnt lgkmcnt(0)
	; wave barrier
	s_waitcnt lgkmcnt(0)
	global_load_dwordx4 v[52:55], v52, s[10:11] offset:32
	v_accvgpr_write_b32 a6, v70
	ds_read_b128 v[56:59], v176
	ds_read_b128 v[60:63], v176 offset:896
	ds_read_b128 v[66:69], v176 offset:5376
	;; [unrolled: 1-line block ×7, first 2 shown]
	s_movk_i32 s2, 0x78
	v_lshrrev_b32_e32 v105, 5, v105
	v_mul_u32_u24_e32 v105, 0x60, v105
	v_or_b32_e32 v105, v105, v155
	v_lshlrev_b32_e32 v249, 4, v105
	v_lshrrev_b32_e32 v104, 5, v104
	v_mul_u32_u24_e32 v104, 0x60, v104
	v_or_b32_e32 v104, v104, v162
	v_lshlrev_b32_e32 v250, 4, v104
	s_waitcnt vmcnt(0) lgkmcnt(5)
	v_mul_f64 v[70:71], v[68:69], v[54:55]
	v_fma_f64 v[70:71], v[66:67], v[52:53], -v[70:71]
	v_mul_f64 v[98:99], v[66:67], v[54:55]
	s_waitcnt lgkmcnt(4)
	v_mul_f64 v[66:67], v[80:81], v[54:55]
	v_fma_f64 v[100:101], v[78:79], v[52:53], -v[66:67]
	s_waitcnt lgkmcnt(3)
	v_mul_f64 v[66:67], v[84:85], v[54:55]
	v_mul_f64 v[108:109], v[82:83], v[54:55]
	v_fma_f64 v[106:107], v[82:83], v[52:53], -v[66:67]
	v_fmac_f64_e32 v[108:109], v[84:85], v[52:53]
	s_waitcnt lgkmcnt(2)
	v_mul_f64 v[66:67], v[88:89], v[54:55]
	ds_read_b128 v[82:85], v176 offset:1792
	v_fma_f64 v[110:111], v[86:87], v[52:53], -v[66:67]
	s_waitcnt lgkmcnt(2)
	v_mul_f64 v[66:67], v[92:93], v[54:55]
	v_fmac_f64_e32 v[98:99], v[68:69], v[52:53]
	v_fma_f64 v[114:115], v[90:91], v[52:53], -v[66:67]
	s_waitcnt lgkmcnt(1)
	v_mul_f64 v[66:67], v[96:97], v[54:55]
	v_mul_f64 v[102:103], v[78:79], v[54:55]
	;; [unrolled: 1-line block ×3, first 2 shown]
	v_fma_f64 v[118:119], v[94:95], v[52:53], -v[66:67]
	v_add_f64 v[66:67], v[56:57], -v[70:71]
	v_add_f64 v[68:69], v[58:59], -v[98:99]
	v_and_or_b32 v70, v72, s2, v65
	v_fmac_f64_e32 v[102:103], v[80:81], v[52:53]
	v_fmac_f64_e32 v[112:113], v[88:89], v[52:53]
	ds_read_b128 v[86:89], v176 offset:2688
	v_mul_f64 v[116:117], v[90:91], v[54:55]
	v_fma_f64 v[56:57], v[56:57], 2.0, -v[66:67]
	v_fma_f64 v[58:59], v[58:59], 2.0, -v[68:69]
	v_lshlrev_b32_e32 v70, 4, v70
	s_movk_i32 s2, 0xf8
	v_fmac_f64_e32 v[116:117], v[92:93], v[52:53]
	v_add_f64 v[78:79], v[60:61], -v[100:101]
	v_add_f64 v[80:81], v[62:63], -v[102:103]
	s_waitcnt lgkmcnt(1)
	v_add_f64 v[90:91], v[82:83], -v[106:107]
	v_add_f64 v[92:93], v[84:85], -v[108:109]
	ds_read_b128 v[98:101], v176 offset:3584
	ds_read_b128 v[106:109], v176 offset:4480
	s_waitcnt lgkmcnt(0)
	; wave barrier
	s_waitcnt lgkmcnt(0)
	ds_write_b128 v70, v[56:59]
	v_and_or_b32 v56, v76, s2, v65
	v_fma_f64 v[60:61], v[60:61], 2.0, -v[78:79]
	v_fma_f64 v[62:63], v[62:63], 2.0, -v[80:81]
	v_lshlrev_b32_e32 v56, 4, v56
	s_movk_i32 s2, 0x1f8
	ds_write_b128 v70, v[66:69] offset:64
	ds_write_b128 v56, v[60:63]
	v_accvgpr_write_b32 a13, v56
	ds_write_b128 v56, v[78:81] offset:64
	v_and_or_b32 v56, v77, s2, v65
	v_mul_f64 v[120:121], v[94:95], v[54:55]
	v_fma_f64 v[82:83], v[82:83], 2.0, -v[90:91]
	v_fma_f64 v[84:85], v[84:85], 2.0, -v[92:93]
	v_lshlrev_b32_e32 v56, 4, v56
	v_fmac_f64_e32 v[120:121], v[96:97], v[52:53]
	v_add_f64 v[94:95], v[86:87], -v[110:111]
	v_add_f64 v[96:97], v[88:89], -v[112:113]
	ds_write_b128 v56, v[82:85]
	v_accvgpr_write_b32 a14, v56
	ds_write_b128 v56, v[90:93] offset:64
	v_and_or_b32 v56, v75, s2, v65
	v_fma_f64 v[86:87], v[86:87], 2.0, -v[94:95]
	v_fma_f64 v[88:89], v[88:89], 2.0, -v[96:97]
	v_lshlrev_b32_e32 v56, 4, v56
	s_movk_i32 s2, 0x3f8
	v_add_f64 v[110:111], v[98:99], -v[114:115]
	v_add_f64 v[112:113], v[100:101], -v[116:117]
	ds_write_b128 v56, v[86:89]
	v_accvgpr_write_b32 a15, v56
	ds_write_b128 v56, v[94:97] offset:64
	v_and_or_b32 v56, v73, s2, v65
	v_fma_f64 v[98:99], v[98:99], 2.0, -v[110:111]
	v_fma_f64 v[100:101], v[100:101], 2.0, -v[112:113]
	v_lshlrev_b32_e32 v56, 4, v56
	s_movk_i32 s2, 0x2f8
	v_add_f64 v[114:115], v[106:107], -v[118:119]
	v_add_f64 v[116:117], v[108:109], -v[120:121]
	ds_write_b128 v56, v[98:101]
	v_accvgpr_write_b32 a16, v56
	ds_write_b128 v56, v[110:113] offset:64
	v_and_or_b32 v56, v74, s2, v65
	v_fma_f64 v[106:107], v[106:107], 2.0, -v[114:115]
	v_fma_f64 v[108:109], v[108:109], 2.0, -v[116:117]
	v_lshlrev_b32_e32 v56, 4, v56
	v_and_b32_e32 v65, 7, v178
	ds_write_b128 v56, v[106:109]
	v_accvgpr_write_b32 a17, v56
	ds_write_b128 v56, v[114:117] offset:64
	v_lshlrev_b32_e32 v56, 4, v65
	s_waitcnt lgkmcnt(0)
	; wave barrier
	s_waitcnt lgkmcnt(0)
	global_load_dwordx4 v[56:59], v56, s[10:11] offset:96
	ds_read_b128 v[60:63], v176 offset:5376
	ds_read_b128 v[66:69], v176 offset:6272
	;; [unrolled: 1-line block ×4, first 2 shown]
	v_accvgpr_write_b32 a12, v70
	s_movk_i32 s2, 0x70
	ds_read_b128 v[106:109], v176 offset:3584
	ds_read_b128 v[110:113], v176 offset:4480
	s_waitcnt vmcnt(0) lgkmcnt(5)
	v_mul_f64 v[70:71], v[62:63], v[58:59]
	v_fma_f64 v[70:71], v[60:61], v[56:57], -v[70:71]
	v_mul_f64 v[86:87], v[60:61], v[58:59]
	s_waitcnt lgkmcnt(4)
	v_mul_f64 v[60:61], v[68:69], v[58:59]
	v_fma_f64 v[88:89], v[66:67], v[56:57], -v[60:61]
	s_waitcnt lgkmcnt(3)
	v_mul_f64 v[60:61], v[80:81], v[58:59]
	v_fmac_f64_e32 v[86:87], v[62:63], v[56:57]
	v_fma_f64 v[94:95], v[78:79], v[56:57], -v[60:61]
	ds_read_b128 v[60:63], v176 offset:8960
	v_mul_f64 v[90:91], v[66:67], v[58:59]
	s_waitcnt lgkmcnt(3)
	v_mul_f64 v[66:67], v[84:85], v[58:59]
	v_fmac_f64_e32 v[90:91], v[68:69], v[56:57]
	v_fma_f64 v[98:99], v[82:83], v[56:57], -v[66:67]
	ds_read_b128 v[66:69], v176 offset:9856
	v_mul_f64 v[96:97], v[78:79], v[58:59]
	s_waitcnt lgkmcnt(1)
	v_mul_f64 v[78:79], v[62:63], v[58:59]
	v_mul_f64 v[116:117], v[60:61], v[58:59]
	v_fma_f64 v[102:103], v[60:61], v[56:57], -v[78:79]
	v_fmac_f64_e32 v[116:117], v[62:63], v[56:57]
	ds_read_b128 v[60:63], v176
	s_waitcnt lgkmcnt(1)
	v_mul_f64 v[78:79], v[68:69], v[58:59]
	v_mul_f64 v[120:121], v[66:67], v[58:59]
	v_fma_f64 v[118:119], v[66:67], v[56:57], -v[78:79]
	v_fmac_f64_e32 v[120:121], v[68:69], v[56:57]
	ds_read_b128 v[66:69], v176 offset:896
	v_fmac_f64_e32 v[96:97], v[80:81], v[56:57]
	s_waitcnt lgkmcnt(1)
	v_add_f64 v[78:79], v[60:61], -v[70:71]
	v_add_f64 v[80:81], v[62:63], -v[86:87]
	v_and_or_b32 v70, v72, s2, v65
	v_mul_f64 v[100:101], v[82:83], v[58:59]
	v_fma_f64 v[60:61], v[60:61], 2.0, -v[78:79]
	v_fma_f64 v[62:63], v[62:63], 2.0, -v[80:81]
	v_lshlrev_b32_e32 v70, 4, v70
	s_movk_i32 s2, 0xf0
	v_fmac_f64_e32 v[100:101], v[84:85], v[56:57]
	s_waitcnt lgkmcnt(0)
	v_add_f64 v[82:83], v[66:67], -v[88:89]
	ds_read_b128 v[86:89], v176 offset:1792
	v_add_f64 v[84:85], v[68:69], -v[90:91]
	ds_read_b128 v[90:93], v176 offset:2688
	s_waitcnt lgkmcnt(0)
	; wave barrier
	s_waitcnt lgkmcnt(0)
	ds_write_b128 v70, v[60:63]
	v_and_or_b32 v60, v76, s2, v65
	v_fma_f64 v[66:67], v[66:67], 2.0, -v[82:83]
	v_fma_f64 v[68:69], v[68:69], 2.0, -v[84:85]
	v_lshlrev_b32_e32 v60, 4, v60
	s_movk_i32 s2, 0x1f0
	ds_write_b128 v70, v[78:81] offset:128
	ds_write_b128 v60, v[66:69]
	v_accvgpr_write_b32 a19, v60
	ds_write_b128 v60, v[82:85] offset:128
	v_and_or_b32 v60, v77, s2, v65
	v_lshlrev_b32_e32 v177, 4, v60
	v_and_or_b32 v60, v75, s2, v65
	s_movk_i32 s2, 0x3f0
	v_lshlrev_b32_e32 v181, 4, v60
	v_and_or_b32 v60, v73, s2, v65
	s_movk_i32 s2, 0x2f0
	v_add_f64 v[94:95], v[86:87], -v[94:95]
	v_add_f64 v[96:97], v[88:89], -v[96:97]
	;; [unrolled: 1-line block ×8, first 2 shown]
	v_lshlrev_b32_e32 v251, 4, v60
	v_and_or_b32 v60, v74, s2, v65
	v_fma_f64 v[86:87], v[86:87], 2.0, -v[94:95]
	v_fma_f64 v[88:89], v[88:89], 2.0, -v[96:97]
	;; [unrolled: 1-line block ×8, first 2 shown]
	v_lshlrev_b32_e32 v246, 4, v60
	v_lshlrev_b32_e32 v60, 4, v130
	ds_write_b128 v177, v[86:89]
	ds_write_b128 v177, v[94:97] offset:128
	ds_write_b128 v181, v[90:93]
	ds_write_b128 v181, v[98:101] offset:128
	ds_write_b128 v251, v[106:109]
	ds_write_b128 v251, v[114:117] offset:128
	ds_write_b128 v246, v[110:113]
	ds_write_b128 v246, v[118:121] offset:128
	s_waitcnt lgkmcnt(0)
	; wave barrier
	s_waitcnt lgkmcnt(0)
	global_load_dwordx4 v[60:63], v60, s[10:11] offset:224
	v_lshlrev_b32_e32 v78, 4, v132
	global_load_dwordx4 v[64:67], v78, s[10:11] offset:224
	v_lshlrev_b32_e32 v68, 4, v131
	global_load_dwordx2 v[182:183], v68, s[10:11] offset:224
	v_lshlrev_b32_e32 v79, 4, v133
	v_accvgpr_write_b32 a18, v70
	global_load_dwordx4 v[68:71], v79, s[10:11] offset:224
	global_load_dwordx2 v[184:185], v78, s[10:11] offset:232
	ds_read_b128 v[78:81], v176 offset:5376
	ds_read_b128 v[82:85], v176 offset:6272
	;; [unrolled: 1-line block ×5, first 2 shown]
	v_and_or_b32 v72, v72, s12, v130
	s_movk_i32 s2, 0xe0
	v_lshlrev_b32_e32 v240, 4, v72
	v_and_or_b32 v72, v76, s2, v131
	s_movk_i32 s2, 0x1e0
	v_lshlrev_b32_e32 v241, 4, v72
	v_and_or_b32 v72, v77, s2, v130
	v_lshlrev_b32_e32 v242, 4, v72
	v_and_or_b32 v72, v75, s2, v133
	s_movk_i32 s2, 0x3e0
	v_lshlrev_b32_e32 v243, 4, v72
	v_and_or_b32 v72, v73, s2, v130
	v_lshlrev_b32_e32 v244, 4, v72
	s_movk_i32 s2, 0x2e0
	v_and_or_b32 v72, v74, s2, v132
	v_lshlrev_b32_e32 v245, 4, v72
	s_mov_b32 s2, 0xe8584caa
	s_mov_b32 s3, 0x3febb67a
	;; [unrolled: 1-line block ×3, first 2 shown]
	s_waitcnt vmcnt(4) lgkmcnt(4)
	v_mul_f64 v[86:87], v[80:81], v[62:63]
	v_mul_f64 v[88:89], v[78:79], v[62:63]
	v_fma_f64 v[86:87], v[78:79], v[60:61], -v[86:87]
	v_fmac_f64_e32 v[88:89], v[80:81], v[60:61]
	s_waitcnt vmcnt(3) lgkmcnt(3)
	v_mul_f64 v[90:91], v[84:85], v[66:67]
	ds_read_b128 v[78:81], v176 offset:7168
	v_mul_f64 v[92:93], v[82:83], v[66:67]
	s_waitcnt vmcnt(2)
	v_fma_f64 v[90:91], v[82:83], v[182:183], -v[90:91]
	v_fmac_f64_e32 v[92:93], v[84:85], v[182:183]
	ds_read_b128 v[82:85], v176 offset:8064
	s_waitcnt lgkmcnt(1)
	v_mul_f64 v[94:95], v[80:81], v[62:63]
	v_mul_f64 v[108:109], v[78:79], v[62:63]
	v_fma_f64 v[102:103], v[78:79], v[60:61], -v[94:95]
	v_fmac_f64_e32 v[108:109], v[80:81], v[60:61]
	s_waitcnt vmcnt(1) lgkmcnt(0)
	v_mul_f64 v[94:95], v[84:85], v[70:71]
	ds_read_b128 v[78:81], v176 offset:8960
	v_mul_f64 v[112:113], v[82:83], v[70:71]
	v_fma_f64 v[110:111], v[82:83], v[68:69], -v[94:95]
	v_fmac_f64_e32 v[112:113], v[84:85], v[68:69]
	ds_read_b128 v[82:85], v176 offset:9856
	s_waitcnt lgkmcnt(1)
	v_mul_f64 v[94:95], v[80:81], v[62:63]
	v_fma_f64 v[122:123], v[78:79], v[60:61], -v[94:95]
	v_mul_f64 v[124:125], v[78:79], v[62:63]
	v_fmac_f64_e32 v[124:125], v[80:81], v[60:61]
	s_waitcnt vmcnt(0) lgkmcnt(0)
	v_mul_f64 v[94:95], v[84:85], v[184:185]
	v_mul_f64 v[128:129], v[82:83], v[184:185]
	ds_read_b128 v[78:81], v176
	v_fma_f64 v[126:127], v[82:83], v[64:65], -v[94:95]
	v_fmac_f64_e32 v[128:129], v[84:85], v[64:65]
	ds_read_b128 v[82:85], v176 offset:896
	ds_read_b128 v[94:97], v176 offset:1792
	s_waitcnt lgkmcnt(2)
	v_add_f64 v[86:87], v[78:79], -v[86:87]
	v_add_f64 v[88:89], v[80:81], -v[88:89]
	;; [unrolled: 1-line block ×3, first 2 shown]
	s_waitcnt lgkmcnt(1)
	v_add_f64 v[90:91], v[82:83], -v[90:91]
	v_add_f64 v[92:93], v[84:85], -v[92:93]
	s_waitcnt lgkmcnt(0)
	v_add_f64 v[106:107], v[94:95], -v[102:103]
	v_add_f64 v[108:109], v[96:97], -v[108:109]
	v_add_f64 v[112:113], v[100:101], -v[112:113]
	v_add_f64 v[122:123], v[114:115], -v[122:123]
	v_add_f64 v[124:125], v[116:117], -v[124:125]
	v_fma_f64 v[78:79], v[78:79], 2.0, -v[86:87]
	v_fma_f64 v[80:81], v[80:81], 2.0, -v[88:89]
	;; [unrolled: 1-line block ×10, first 2 shown]
	v_add_f64 v[126:127], v[118:119], -v[126:127]
	v_add_f64 v[128:129], v[120:121], -v[128:129]
	s_waitcnt lgkmcnt(0)
	; wave barrier
	ds_write_b128 v240, v[78:81]
	ds_write_b128 v240, v[86:89] offset:256
	ds_write_b128 v241, v[82:85]
	ds_write_b128 v241, v[90:93] offset:256
	;; [unrolled: 2-line block ×5, first 2 shown]
	v_and_b32_e32 v122, 31, v178
	v_fma_f64 v[118:119], v[118:119], 2.0, -v[126:127]
	v_fma_f64 v[120:121], v[120:121], 2.0, -v[128:129]
	v_lshlrev_b32_e32 v76, 5, v122
	ds_write_b128 v245, v[118:121]
	ds_write_b128 v245, v[126:129] offset:256
	s_waitcnt lgkmcnt(0)
	; wave barrier
	s_waitcnt lgkmcnt(0)
	global_load_dwordx4 v[72:75], v76, s[10:11] offset:480
	s_nop 0
	global_load_dwordx4 v[76:79], v76, s[10:11] offset:496
	v_lshlrev_b32_e32 v84, 5, v154
	global_load_dwordx4 v[80:83], v84, s[10:11] offset:480
	s_nop 0
	global_load_dwordx4 v[84:87], v84, s[10:11] offset:496
	v_lshlrev_b32_e32 v92, 5, v155
	;; [unrolled: 4-line block ×3, first 2 shown]
	global_load_dwordx4 v[96:99], v100, s[10:11] offset:480
	s_nop 0
	global_load_dwordx4 v[100:103], v100, s[10:11] offset:496
	ds_read_b128 v[106:109], v176 offset:3584
	ds_read_b128 v[110:113], v176 offset:4480
	;; [unrolled: 1-line block ×3, first 2 shown]
	s_waitcnt vmcnt(7) lgkmcnt(2)
	v_mul_f64 v[118:119], v[108:109], v[74:75]
	v_mul_f64 v[124:125], v[106:107], v[74:75]
	v_fma_f64 v[118:119], v[106:107], v[72:73], -v[118:119]
	v_fmac_f64_e32 v[124:125], v[108:109], v[72:73]
	ds_read_b128 v[106:109], v176 offset:8064
	s_waitcnt vmcnt(6) lgkmcnt(1)
	v_mul_f64 v[120:121], v[116:117], v[78:79]
	v_fma_f64 v[126:127], v[114:115], v[76:77], -v[120:121]
	v_mul_f64 v[128:129], v[114:115], v[78:79]
	s_waitcnt vmcnt(5)
	v_mul_f64 v[114:115], v[112:113], v[82:83]
	v_mul_f64 v[132:133], v[110:111], v[82:83]
	v_fma_f64 v[130:131], v[110:111], v[80:81], -v[114:115]
	v_fmac_f64_e32 v[132:133], v[112:113], v[80:81]
	s_waitcnt vmcnt(4) lgkmcnt(0)
	v_mul_f64 v[114:115], v[108:109], v[86:87]
	ds_read_b128 v[110:113], v176 offset:5376
	v_fmac_f64_e32 v[128:129], v[116:117], v[76:77]
	v_fma_f64 v[134:135], v[106:107], v[84:85], -v[114:115]
	v_mul_f64 v[136:137], v[106:107], v[86:87]
	ds_read_b128 v[114:117], v176 offset:8960
	v_fmac_f64_e32 v[136:137], v[108:109], v[84:85]
	ds_read_b128 v[106:109], v176 offset:6272
	s_waitcnt vmcnt(3) lgkmcnt(2)
	v_mul_f64 v[120:121], v[112:113], v[90:91]
	v_mul_f64 v[140:141], v[110:111], v[90:91]
	v_fma_f64 v[138:139], v[110:111], v[88:89], -v[120:121]
	v_fmac_f64_e32 v[140:141], v[112:113], v[88:89]
	ds_read_b128 v[110:113], v176 offset:9856
	s_waitcnt vmcnt(2) lgkmcnt(2)
	v_mul_f64 v[120:121], v[116:117], v[94:95]
	v_fma_f64 v[142:143], v[114:115], v[92:93], -v[120:121]
	v_mul_f64 v[148:149], v[114:115], v[94:95]
	s_waitcnt vmcnt(1) lgkmcnt(1)
	v_mul_f64 v[114:115], v[108:109], v[98:99]
	v_mul_f64 v[156:157], v[106:107], v[98:99]
	v_fma_f64 v[150:151], v[106:107], v[96:97], -v[114:115]
	v_fmac_f64_e32 v[156:157], v[108:109], v[96:97]
	ds_read_b128 v[106:109], v176
	v_lshrrev_b32_e32 v120, 5, v178
	s_waitcnt vmcnt(0) lgkmcnt(1)
	v_mul_f64 v[114:115], v[112:113], v[102:103]
	v_mul_f64 v[160:161], v[110:111], v[102:103]
	v_mul_u32_u24_e32 v120, 0x60, v120
	v_fmac_f64_e32 v[148:149], v[116:117], v[92:93]
	v_fma_f64 v[158:159], v[110:111], v[100:101], -v[114:115]
	v_fmac_f64_e32 v[160:161], v[112:113], v[100:101]
	ds_read_b128 v[110:113], v176 offset:896
	s_waitcnt lgkmcnt(1)
	v_add_f64 v[114:115], v[106:107], v[118:119]
	v_add_f64 v[116:117], v[108:109], v[124:125]
	v_or_b32_e32 v152, v120, v122
	v_add_f64 v[114:115], v[114:115], v[126:127]
	v_add_f64 v[116:117], v[116:117], v[128:129]
	v_lshlrev_b32_e32 v247, 4, v152
	ds_read_b128 v[120:123], v176 offset:1792
	ds_read_b128 v[144:147], v176 offset:2688
	s_waitcnt lgkmcnt(0)
	; wave barrier
	s_waitcnt lgkmcnt(0)
	ds_write_b128 v247, v[114:117]
	v_add_f64 v[114:115], v[118:119], v[126:127]
	v_fmac_f64_e32 v[106:107], -0.5, v[114:115]
	v_add_f64 v[114:115], v[124:125], v[128:129]
	v_add_f64 v[152:153], v[124:125], -v[128:129]
	v_fmac_f64_e32 v[108:109], -0.5, v[114:115]
	v_add_f64 v[118:119], v[118:119], -v[126:127]
	v_fma_f64 v[114:115], s[2:3], v[152:153], v[106:107]
	v_fma_f64 v[116:117], s[14:15], v[118:119], v[108:109]
	ds_write_b128 v247, v[114:117] offset:512
	v_lshrrev_b32_e32 v114, 5, v186
	v_fmac_f64_e32 v[106:107], s[14:15], v[152:153]
	v_fmac_f64_e32 v[108:109], s[2:3], v[118:119]
	v_mul_u32_u24_e32 v114, 0x60, v114
	ds_write_b128 v247, v[106:109] offset:1024
	v_add_f64 v[106:107], v[110:111], v[130:131]
	v_add_f64 v[108:109], v[112:113], v[132:133]
	v_or_b32_e32 v114, v114, v154
	v_add_f64 v[106:107], v[106:107], v[134:135]
	v_add_f64 v[108:109], v[108:109], v[136:137]
	v_lshlrev_b32_e32 v248, 4, v114
	ds_write_b128 v248, v[106:109]
	v_add_f64 v[106:107], v[130:131], v[134:135]
	v_fmac_f64_e32 v[110:111], -0.5, v[106:107]
	v_add_f64 v[106:107], v[132:133], v[136:137]
	v_add_f64 v[114:115], v[132:133], -v[136:137]
	v_fmac_f64_e32 v[112:113], -0.5, v[106:107]
	v_add_f64 v[116:117], v[130:131], -v[134:135]
	v_fma_f64 v[106:107], s[2:3], v[114:115], v[110:111]
	v_fma_f64 v[108:109], s[14:15], v[116:117], v[112:113]
	ds_write_b128 v248, v[106:109] offset:512
	v_add_f64 v[106:107], v[120:121], v[138:139]
	v_add_f64 v[108:109], v[122:123], v[140:141]
	v_fmac_f64_e32 v[110:111], s[14:15], v[114:115]
	v_fmac_f64_e32 v[112:113], s[2:3], v[116:117]
	v_add_f64 v[106:107], v[106:107], v[142:143]
	v_add_f64 v[108:109], v[108:109], v[148:149]
	ds_write_b128 v248, v[110:113] offset:1024
	ds_write_b128 v249, v[106:109]
	v_add_f64 v[106:107], v[138:139], v[142:143]
	v_fmac_f64_e32 v[120:121], -0.5, v[106:107]
	v_add_f64 v[106:107], v[140:141], -v[148:149]
	v_fma_f64 v[152:153], s[2:3], v[106:107], v[120:121]
	v_fmac_f64_e32 v[120:121], s[14:15], v[106:107]
	v_add_f64 v[106:107], v[140:141], v[148:149]
	v_fmac_f64_e32 v[122:123], -0.5, v[106:107]
	v_add_f64 v[106:107], v[138:139], -v[142:143]
	v_fma_f64 v[154:155], s[14:15], v[106:107], v[122:123]
	v_fmac_f64_e32 v[122:123], s[2:3], v[106:107]
	v_add_f64 v[106:107], v[144:145], v[150:151]
	v_add_f64 v[168:169], v[106:107], v[158:159]
	;; [unrolled: 1-line block ×6, first 2 shown]
	v_fmac_f64_e32 v[144:145], -0.5, v[108:109]
	v_add_f64 v[108:109], v[156:157], -v[160:161]
	v_fmac_f64_e32 v[146:147], -0.5, v[106:107]
	v_add_f64 v[106:107], v[150:151], -v[158:159]
	v_fma_f64 v[172:173], s[2:3], v[108:109], v[144:145]
	v_fmac_f64_e32 v[144:145], s[14:15], v[108:109]
	v_fma_f64 v[174:175], s[14:15], v[106:107], v[146:147]
	v_fmac_f64_e32 v[146:147], s[2:3], v[106:107]
	ds_write_b128 v249, v[152:155] offset:512
	ds_write_b128 v249, v[120:123] offset:1024
	ds_write_b128 v250, v[168:171]
	ds_write_b128 v250, v[172:175] offset:512
	ds_write_b128 v250, v[144:147] offset:1024
	s_waitcnt lgkmcnt(0)
	; wave barrier
	s_waitcnt lgkmcnt(0)
	ds_read_b128 v[156:159], v176
	ds_read_b128 v[148:151], v176 offset:1536
	ds_read_b128 v[136:139], v176 offset:3072
	;; [unrolled: 1-line block ×6, first 2 shown]
	s_load_dwordx2 s[2:3], s[0:1], 0x38
                                        ; implicit-def: $vgpr160_vgpr161
	s_and_saveexec_b64 s[0:1], vcc
	s_cbranch_execz .LBB0_3
; %bb.2:
	ds_read_b128 v[152:155], v176 offset:896
	ds_read_b128 v[120:123], v176 offset:2432
	;; [unrolled: 1-line block ×7, first 2 shown]
.LBB0_3:
	s_or_b64 exec, exec, s[0:1]
	v_mov_b64_e32 v[124:125], s[10:11]
	v_mad_u64_u32 v[188:189], s[0:1], v178, s12, v[124:125]
	global_load_dwordx4 v[124:127], v[188:189], off offset:1552
	global_load_dwordx4 v[128:131], v[188:189], off offset:1536
	;; [unrolled: 1-line block ×4, first 2 shown]
	s_mov_b32 s16, 0xe976ee23
	s_mov_b32 s14, 0x37e14327
	;; [unrolled: 1-line block ×17, first 2 shown]
	s_waitcnt vmcnt(3) lgkmcnt(0)
	v_mul_f64 v[208:209], v[112:113], v[126:127]
	s_waitcnt vmcnt(2)
	v_mul_f64 v[204:205], v[116:117], v[130:131]
	s_waitcnt vmcnt(1)
	;; [unrolled: 2-line block ×3, first 2 shown]
	v_mul_f64 v[190:191], v[150:151], v[142:143]
	v_fma_f64 v[194:195], v[148:149], v[140:141], -v[190:191]
	v_mul_f64 v[196:197], v[148:149], v[142:143]
	v_mul_f64 v[148:149], v[138:139], v[134:135]
	v_fma_f64 v[198:199], v[136:137], v[132:133], -v[148:149]
	v_mul_f64 v[136:137], v[118:119], v[130:131]
	v_fmac_f64_e32 v[196:197], v[150:151], v[140:141]
	v_fmac_f64_e32 v[200:201], v[138:139], v[132:133]
	v_fma_f64 v[202:203], v[116:117], v[128:129], -v[136:137]
	global_load_dwordx4 v[136:139], v[188:189], off offset:1584
	global_load_dwordx4 v[148:151], v[188:189], off offset:1568
	v_mul_f64 v[116:117], v[114:115], v[126:127]
	v_fma_f64 v[206:207], v[112:113], v[124:125], -v[116:117]
	v_fmac_f64_e32 v[204:205], v[118:119], v[128:129]
	v_fmac_f64_e32 v[208:209], v[114:115], v[124:125]
	s_waitcnt vmcnt(1)
	v_mul_f64 v[216:217], v[104:105], v[138:139]
	s_waitcnt vmcnt(0)
	v_mul_f64 v[112:113], v[110:111], v[150:151]
	v_fma_f64 v[210:211], v[108:109], v[148:149], -v[112:113]
	v_mul_f64 v[212:213], v[108:109], v[150:151]
	v_mul_f64 v[108:109], v[106:107], v[138:139]
	v_fma_f64 v[214:215], v[104:105], v[136:137], -v[108:109]
	v_subrev_u32_e32 v104, 40, v178
	v_cndmask_b32_e32 v104, v104, v186, vcc
	v_mul_hi_i32_i24_e32 v105, 0x60, v104
	v_mul_i32_i24_e32 v104, 0x60, v104
	v_lshl_add_u64 v[218:219], s[10:11], 0, v[104:105]
	v_fmac_f64_e32 v[212:213], v[110:111], v[148:149]
	v_fmac_f64_e32 v[216:217], v[106:107], v[136:137]
	global_load_dwordx4 v[104:107], v[218:219], off offset:1552
	global_load_dwordx4 v[108:111], v[218:219], off offset:1536
	;; [unrolled: 1-line block ×4, first 2 shown]
	s_mov_b32 s10, 0x5476071b
	s_mov_b32 s11, 0x3fe77f67
	;; [unrolled: 1-line block ×3, first 2 shown]
	s_waitcnt vmcnt(3)
	v_mul_f64 v[192:193], v[144:145], v[106:107]
	v_fmac_f64_e32 v[192:193], v[146:147], v[104:105]
	s_waitcnt vmcnt(0)
	v_mul_f64 v[186:187], v[122:123], v[118:119]
	v_fma_f64 v[186:187], v[120:121], v[116:117], -v[186:187]
	v_mul_f64 v[188:189], v[120:121], v[118:119]
	v_mul_f64 v[120:121], v[170:171], v[114:115]
	v_fma_f64 v[190:191], v[168:169], v[112:113], -v[120:121]
	v_mul_f64 v[168:169], v[168:169], v[114:115]
	v_mul_f64 v[120:121], v[174:175], v[110:111]
	v_fmac_f64_e32 v[168:169], v[170:171], v[112:113]
	v_fma_f64 v[170:171], v[172:173], v[108:109], -v[120:121]
	v_mul_f64 v[172:173], v[172:173], v[110:111]
	v_mul_f64 v[120:121], v[146:147], v[106:107]
	v_fmac_f64_e32 v[188:189], v[122:123], v[116:117]
	v_fmac_f64_e32 v[172:173], v[174:175], v[108:109]
	v_fma_f64 v[174:175], v[144:145], v[104:105], -v[120:121]
	global_load_dwordx4 v[120:123], v[218:219], off offset:1584
	global_load_dwordx4 v[144:147], v[218:219], off offset:1568
	s_waitcnt vmcnt(0)
	v_mul_f64 v[218:219], v[162:163], v[146:147]
	v_fma_f64 v[238:239], v[160:161], v[144:145], -v[218:219]
	v_mul_f64 v[160:161], v[160:161], v[146:147]
	v_fmac_f64_e32 v[160:161], v[162:163], v[144:145]
	v_mul_f64 v[162:163], v[166:167], v[122:123]
	v_fma_f64 v[162:163], v[164:165], v[120:121], -v[162:163]
	v_mul_f64 v[164:165], v[164:165], v[122:123]
	v_fmac_f64_e32 v[164:165], v[166:167], v[120:121]
	v_add_f64 v[166:167], v[194:195], v[214:215]
	v_add_f64 v[194:195], v[194:195], -v[214:215]
	v_add_f64 v[214:215], v[198:199], v[210:211]
	v_add_f64 v[218:219], v[196:197], v[216:217]
	v_add_f64 v[196:197], v[196:197], -v[216:217]
	v_add_f64 v[216:217], v[200:201], v[212:213]
	v_add_f64 v[198:199], v[198:199], -v[210:211]
	;; [unrolled: 2-line block ×6, first 2 shown]
	v_add_f64 v[224:225], v[210:211], -v[214:215]
	v_add_f64 v[214:215], v[202:203], v[198:199]
	v_add_f64 v[206:207], v[210:211], v[206:207]
	v_add_f64 v[222:223], v[216:217], -v[218:219]
	v_add_f64 v[226:227], v[212:213], -v[216:217]
	v_add_f64 v[216:217], v[204:205], v[200:201]
	v_add_f64 v[228:229], v[202:203], -v[198:199]
	v_add_f64 v[230:231], v[204:205], -v[200:201]
	v_add_f64 v[202:203], v[194:195], -v[202:203]
	v_add_f64 v[198:199], v[198:199], -v[194:195]
	v_add_f64 v[208:209], v[212:213], v[208:209]
	v_add_f64 v[194:195], v[214:215], v[194:195]
	;; [unrolled: 1-line block ×3, first 2 shown]
	v_add_f64 v[166:167], v[166:167], -v[210:211]
	v_add_f64 v[218:219], v[218:219], -v[212:213]
	;; [unrolled: 1-line block ×4, first 2 shown]
	v_add_f64 v[196:197], v[216:217], v[196:197]
	v_add_f64 v[216:217], v[158:159], v[208:209]
	v_mul_f64 v[234:235], v[230:231], s[16:17]
	v_mov_b64_e32 v[230:231], v[214:215]
	v_mul_f64 v[156:157], v[166:167], s[14:15]
	v_mul_f64 v[158:159], v[218:219], s[14:15]
	v_mul_f64 v[166:167], v[224:225], s[0:1]
	v_mul_f64 v[210:211], v[226:227], s[0:1]
	v_mul_f64 v[212:213], v[228:229], s[16:17]
	v_fmac_f64_e32 v[230:231], s[20:21], v[206:207]
	v_mov_b64_e32 v[206:207], v[216:217]
	v_mul_f64 v[218:219], v[198:199], s[18:19]
	v_mul_f64 v[228:229], v[200:201], s[18:19]
	v_fmac_f64_e32 v[206:207], s[20:21], v[208:209]
	v_fma_f64 v[166:167], v[220:221], s[10:11], -v[166:167]
	v_fma_f64 v[208:209], v[222:223], s[10:11], -v[210:211]
	;; [unrolled: 1-line block ×3, first 2 shown]
	v_fmac_f64_e32 v[156:157], s[0:1], v[224:225]
	v_fma_f64 v[220:221], v[222:223], s[22:23], -v[158:159]
	v_fmac_f64_e32 v[158:159], s[0:1], v[226:227]
	v_fma_f64 v[198:199], v[198:199], s[18:19], -v[212:213]
	;; [unrolled: 2-line block ×4, first 2 shown]
	v_add_f64 v[156:157], v[156:157], v[230:231]
	v_add_f64 v[158:159], v[158:159], v[206:207]
	v_fmac_f64_e32 v[212:213], s[12:13], v[194:195]
	v_fmac_f64_e32 v[234:235], s[12:13], v[196:197]
	v_fma_f64 v[204:205], v[204:205], s[26:27], -v[228:229]
	v_add_f64 v[208:209], v[208:209], v[206:207]
	v_fmac_f64_e32 v[198:199], s[12:13], v[194:195]
	v_fmac_f64_e32 v[202:203], s[12:13], v[194:195]
	v_add_f64 v[252:253], v[234:235], v[156:157]
	v_add_f64 v[254:255], v[158:159], -v[212:213]
	v_add_f64 v[234:235], v[156:157], -v[234:235]
	v_add_f64 v[236:237], v[212:213], v[158:159]
	v_add_f64 v[156:157], v[186:187], v[162:163]
	;; [unrolled: 1-line block ×3, first 2 shown]
	v_add_f64 v[162:163], v[186:187], -v[162:163]
	v_add_f64 v[186:187], v[190:191], v[238:239]
	v_add_f64 v[194:195], v[168:169], v[160:161]
	;; [unrolled: 1-line block ×4, first 2 shown]
	v_fmac_f64_e32 v[200:201], s[12:13], v[196:197]
	v_fmac_f64_e32 v[204:205], s[12:13], v[196:197]
	v_add_f64 v[224:225], v[198:199], v[208:209]
	v_add_f64 v[228:229], v[208:209], -v[198:199]
	v_add_f64 v[188:189], v[188:189], -v[164:165]
	;; [unrolled: 1-line block ×4, first 2 shown]
	v_add_f64 v[168:169], v[170:171], v[174:175]
	v_add_f64 v[196:197], v[172:173], v[192:193]
	v_add_f64 v[170:171], v[174:175], -v[170:171]
	v_add_f64 v[172:173], v[192:193], -v[172:173]
	v_add_f64 v[192:193], v[186:187], v[156:157]
	v_add_f64 v[198:199], v[194:195], v[158:159]
	;; [unrolled: 1-line block ×3, first 2 shown]
	v_add_f64 v[220:221], v[206:207], -v[202:203]
	v_add_f64 v[222:223], v[166:167], -v[200:201]
	v_add_f64 v[226:227], v[200:201], v[166:167]
	v_add_f64 v[232:233], v[202:203], v[206:207]
	v_add_f64 v[164:165], v[186:187], -v[156:157]
	v_add_f64 v[166:167], v[194:195], -v[158:159]
	;; [unrolled: 1-line block ×6, first 2 shown]
	v_add_f64 v[194:195], v[170:171], v[190:191]
	v_add_f64 v[206:207], v[170:171], -v[190:191]
	v_add_f64 v[208:209], v[172:173], -v[160:161]
	;; [unrolled: 1-line block ×5, first 2 shown]
	v_add_f64 v[168:169], v[168:169], v[192:193]
	v_add_f64 v[192:193], v[196:197], v[198:199]
	;; [unrolled: 1-line block ×3, first 2 shown]
	v_add_f64 v[230:231], v[210:211], -v[204:205]
	v_add_f64 v[200:201], v[172:173], v[160:161]
	v_add_f64 v[172:173], v[188:189], -v[172:173]
	v_add_f64 v[202:203], v[194:195], v[162:163]
	v_add_f64 v[160:161], v[152:153], v[168:169]
	;; [unrolled: 1-line block ×3, first 2 shown]
	v_mul_f64 v[152:153], v[156:157], s[14:15]
	v_mul_f64 v[154:155], v[158:159], s[14:15]
	;; [unrolled: 1-line block ×6, first 2 shown]
	v_add_f64 v[204:205], v[200:201], v[188:189]
	v_fma_f64 v[200:201], s[20:21], v[168:169], v[160:161]
	v_fma_f64 v[212:213], s[20:21], v[192:193], v[162:163]
	v_fma_f64 v[156:157], v[164:165], s[22:23], -v[152:153]
	v_fmac_f64_e32 v[152:153], s[0:1], v[174:175]
	v_fma_f64 v[158:159], v[166:167], s[22:23], -v[154:155]
	v_fmac_f64_e32 v[154:155], s[0:1], v[186:187]
	v_fma_f64 v[170:171], s[24:25], v[238:239], v[206:207]
	v_fma_f64 v[168:169], s[24:25], v[172:173], v[190:191]
	v_fma_f64 v[196:197], v[238:239], s[26:27], -v[210:211]
	v_fma_f64 v[192:193], v[172:173], s[26:27], -v[194:195]
	v_add_f64 v[172:173], v[152:153], v[200:201]
	v_add_f64 v[188:189], v[154:155], v[212:213]
	;; [unrolled: 1-line block ×4, first 2 shown]
	v_fmac_f64_e32 v[170:171], s[12:13], v[202:203]
	v_fmac_f64_e32 v[168:169], s[12:13], v[204:205]
	;; [unrolled: 1-line block ×4, first 2 shown]
	v_add_f64 v[152:153], v[198:199], -v[192:193]
	v_add_f64 v[154:155], v[196:197], v[208:209]
	v_add_f64 v[156:157], v[172:173], -v[168:169]
	v_add_f64 v[158:159], v[170:171], v[188:189]
	ds_write_b128 v176, v[214:217]
	ds_write_b128 v176, v[252:255] offset:1536
	ds_write_b128 v176, v[218:221] offset:3072
	;; [unrolled: 1-line block ×6, first 2 shown]
	s_and_saveexec_b64 s[14:15], vcc
	s_cbranch_execz .LBB0_5
; %bb.4:
	v_mul_f64 v[174:175], v[174:175], s[0:1]
	v_mul_f64 v[186:187], v[186:187], s[0:1]
	;; [unrolled: 1-line block ×4, first 2 shown]
	v_add_f64 v[166:167], v[166:167], -v[186:187]
	v_add_f64 v[164:165], v[164:165], -v[174:175]
	v_mul_f64 v[202:203], v[202:203], s[12:13]
	v_mul_f64 v[204:205], v[204:205], s[12:13]
	v_add_f64 v[186:187], v[166:167], v[212:213]
	v_add_f64 v[166:167], v[210:211], -v[206:207]
	v_add_f64 v[174:175], v[164:165], v[200:201]
	v_add_f64 v[164:165], v[194:195], -v[190:191]
	v_add_f64 v[202:203], v[202:203], v[166:167]
	v_add_f64 v[190:191], v[204:205], v[164:165]
	v_add_f64 v[166:167], v[186:187], -v[202:203]
	v_add_f64 v[164:165], v[190:191], v[174:175]
	v_add_f64 v[202:203], v[202:203], v[186:187]
	v_add_f64 v[200:201], v[174:175], -v[190:191]
	v_add_f64 v[194:195], v[208:209], -v[196:197]
	v_add_f64 v[192:193], v[192:193], v[198:199]
	v_add_f64 v[170:171], v[188:189], -v[170:171]
	v_add_f64 v[168:169], v[168:169], v[172:173]
	ds_write_b128 v176, v[160:163] offset:896
	ds_write_b128 v176, v[168:171] offset:2432
	;; [unrolled: 1-line block ×7, first 2 shown]
.LBB0_5:
	s_or_b64 exec, exec, s[14:15]
	s_add_u32 s8, s8, 0x2a00
	s_addc_u32 s9, s9, 0
	v_lshlrev_b32_e32 v164, 4, v178
	s_waitcnt lgkmcnt(0)
	; wave barrier
	s_waitcnt lgkmcnt(0)
	global_load_dwordx4 v[170:173], v164, s[8:9]
	ds_read_b128 v[166:169], v176
	v_mov_b32_e32 v165, 0
	v_lshl_add_u64 v[162:163], s[8:9], 0, v[164:165]
	s_movk_i32 s0, 0x1000
	v_accvgpr_read_b32 v165, a20
	s_waitcnt vmcnt(0) lgkmcnt(0)
	v_mul_f64 v[160:161], v[168:169], v[172:173]
	v_fma_f64 v[186:187], v[166:167], v[170:171], -v[160:161]
	v_add_co_u32_e64 v160, s[0:1], s0, v162
	v_mul_f64 v[188:189], v[166:167], v[172:173]
	s_nop 0
	v_addc_co_u32_e64 v161, s[0:1], 0, v163, s[0:1]
	v_fmac_f64_e32 v[188:189], v[168:169], v[170:171]
	global_load_dwordx4 v[170:173], v[160:161], off offset:1280
	ds_read_b128 v[166:169], v176 offset:5376
	ds_write_b128 v176, v[186:189]
	s_movk_i32 s0, 0x2000
	s_waitcnt vmcnt(0) lgkmcnt(1)
	v_mul_f64 v[174:175], v[168:169], v[172:173]
	v_mul_f64 v[188:189], v[166:167], v[172:173]
	v_fma_f64 v[186:187], v[166:167], v[170:171], -v[174:175]
	v_fmac_f64_e32 v[188:189], v[168:169], v[170:171]
	global_load_dwordx4 v[170:173], v164, s[8:9] offset:896
	ds_read_b128 v[166:169], v176 offset:896
	ds_write_b128 v176, v[186:189] offset:5376
	s_waitcnt vmcnt(0) lgkmcnt(1)
	v_mul_f64 v[174:175], v[168:169], v[172:173]
	v_mul_f64 v[188:189], v[166:167], v[172:173]
	v_fma_f64 v[186:187], v[166:167], v[170:171], -v[174:175]
	v_fmac_f64_e32 v[188:189], v[168:169], v[170:171]
	global_load_dwordx4 v[170:173], v[160:161], off offset:2176
	ds_read_b128 v[166:169], v176 offset:6272
	ds_write_b128 v176, v[186:189] offset:896
	s_waitcnt vmcnt(0) lgkmcnt(1)
	v_mul_f64 v[174:175], v[168:169], v[172:173]
	v_mul_f64 v[188:189], v[166:167], v[172:173]
	v_fma_f64 v[186:187], v[166:167], v[170:171], -v[174:175]
	v_fmac_f64_e32 v[188:189], v[168:169], v[170:171]
	global_load_dwordx4 v[170:173], v164, s[8:9] offset:1792
	ds_read_b128 v[166:169], v176 offset:1792
	ds_write_b128 v176, v[186:189] offset:6272
	s_waitcnt vmcnt(0) lgkmcnt(1)
	v_mul_f64 v[174:175], v[168:169], v[172:173]
	v_mul_f64 v[188:189], v[166:167], v[172:173]
	v_fma_f64 v[186:187], v[166:167], v[170:171], -v[174:175]
	v_fmac_f64_e32 v[188:189], v[168:169], v[170:171]
	global_load_dwordx4 v[170:173], v165, s[8:9]
	ds_read_b128 v[166:169], v176 offset:7168
	ds_write_b128 v176, v[186:189] offset:1792
	s_waitcnt vmcnt(0) lgkmcnt(1)
	v_mul_f64 v[174:175], v[168:169], v[172:173]
	v_mul_f64 v[188:189], v[166:167], v[172:173]
	v_fma_f64 v[186:187], v[166:167], v[170:171], -v[174:175]
	v_fmac_f64_e32 v[188:189], v[168:169], v[170:171]
	global_load_dwordx4 v[170:173], v164, s[8:9] offset:2688
	ds_read_b128 v[166:169], v176 offset:2688
	ds_write_b128 v176, v[186:189] offset:7168
	s_waitcnt vmcnt(0) lgkmcnt(1)
	v_mul_f64 v[174:175], v[168:169], v[172:173]
	v_mul_f64 v[188:189], v[166:167], v[172:173]
	v_fma_f64 v[186:187], v[166:167], v[170:171], -v[174:175]
	v_fmac_f64_e32 v[188:189], v[168:169], v[170:171]
	global_load_dwordx4 v[170:173], v[160:161], off offset:3968
	ds_read_b128 v[166:169], v176 offset:8064
	ds_write_b128 v176, v[186:189] offset:2688
	s_waitcnt vmcnt(0) lgkmcnt(1)
	v_mul_f64 v[174:175], v[168:169], v[172:173]
	v_mul_f64 v[188:189], v[166:167], v[172:173]
	v_fma_f64 v[186:187], v[166:167], v[170:171], -v[174:175]
	v_fmac_f64_e32 v[188:189], v[168:169], v[170:171]
	global_load_dwordx4 v[170:173], v164, s[8:9] offset:3584
	ds_read_b128 v[166:169], v176 offset:3584
	ds_write_b128 v176, v[186:189] offset:8064
	s_mov_b32 s9, 0x3febb67a
	s_waitcnt vmcnt(0) lgkmcnt(1)
	v_mul_f64 v[164:165], v[168:169], v[172:173]
	v_fma_f64 v[164:165], v[166:167], v[170:171], -v[164:165]
	v_mul_f64 v[166:167], v[166:167], v[172:173]
	v_add_co_u32_e64 v172, s[0:1], s0, v162
	v_fmac_f64_e32 v[166:167], v[168:169], v[170:171]
	s_nop 0
	v_addc_co_u32_e64 v173, s[0:1], 0, v163, s[0:1]
	global_load_dwordx4 v[168:171], v[172:173], off offset:768
	ds_write_b128 v176, v[164:167] offset:3584
	ds_read_b128 v[164:167], v176 offset:8960
	s_mov_b32 s0, 0xe8584caa
	s_mov_b32 s1, 0xbfebb67a
	s_mov_b32 s8, s0
	s_waitcnt vmcnt(0) lgkmcnt(0)
	v_mul_f64 v[162:163], v[166:167], v[170:171]
	v_fma_f64 v[162:163], v[164:165], v[168:169], -v[162:163]
	v_mul_f64 v[164:165], v[164:165], v[170:171]
	v_fmac_f64_e32 v[164:165], v[166:167], v[168:169]
	global_load_dwordx4 v[166:169], v[160:161], off offset:384
	ds_write_b128 v176, v[162:165] offset:8960
	ds_read_b128 v[162:165], v176 offset:4480
	s_waitcnt vmcnt(0) lgkmcnt(0)
	v_mul_f64 v[160:161], v[164:165], v[168:169]
	v_fma_f64 v[160:161], v[162:163], v[166:167], -v[160:161]
	v_mul_f64 v[162:163], v[162:163], v[168:169]
	v_fmac_f64_e32 v[162:163], v[164:165], v[166:167]
	global_load_dwordx4 v[164:167], v[172:173], off offset:1664
	ds_write_b128 v176, v[160:163] offset:4480
	ds_read_b128 v[160:163], v176 offset:9856
	s_waitcnt vmcnt(0) lgkmcnt(0)
	v_mul_f64 v[168:169], v[162:163], v[166:167]
	v_mul_f64 v[170:171], v[160:161], v[166:167]
	v_fma_f64 v[168:169], v[160:161], v[164:165], -v[168:169]
	v_fmac_f64_e32 v[170:171], v[162:163], v[164:165]
	ds_write_b128 v176, v[168:171] offset:9856
	s_waitcnt lgkmcnt(0)
	; wave barrier
	s_waitcnt lgkmcnt(0)
	ds_read_b128 v[160:163], v176
	ds_read_b128 v[164:167], v176 offset:5376
	ds_read_b128 v[168:171], v176 offset:896
	ds_read_b128 v[172:175], v176 offset:6272
	ds_read_b128 v[186:189], v176 offset:1792
	ds_read_b128 v[190:193], v176 offset:7168
	ds_read_b128 v[194:197], v176 offset:2688
	ds_read_b128 v[198:201], v176 offset:8064
	ds_read_b128 v[202:205], v176 offset:3584
	ds_read_b128 v[206:209], v176 offset:8960
	ds_read_b128 v[210:213], v176 offset:4480
	ds_read_b128 v[214:217], v176 offset:9856
	s_waitcnt lgkmcnt(10)
	v_add_f64 v[164:165], v[160:161], -v[164:165]
	v_add_f64 v[166:167], v[162:163], -v[166:167]
	v_fma_f64 v[160:161], v[160:161], 2.0, -v[164:165]
	v_fma_f64 v[162:163], v[162:163], 2.0, -v[166:167]
	s_waitcnt lgkmcnt(8)
	v_add_f64 v[172:173], v[168:169], -v[172:173]
	v_add_f64 v[174:175], v[170:171], -v[174:175]
	v_fma_f64 v[168:169], v[168:169], 2.0, -v[172:173]
	v_fma_f64 v[170:171], v[170:171], 2.0, -v[174:175]
	s_waitcnt lgkmcnt(6)
	v_add_f64 v[190:191], v[186:187], -v[190:191]
	v_add_f64 v[192:193], v[188:189], -v[192:193]
	s_waitcnt lgkmcnt(0)
	; wave barrier
	s_waitcnt lgkmcnt(0)
	ds_write_b128 v179, v[160:163]
	ds_write_b128 v179, v[164:167] offset:16
	v_accvgpr_read_b32 v160, a1
	v_fma_f64 v[186:187], v[186:187], 2.0, -v[190:191]
	v_fma_f64 v[188:189], v[188:189], 2.0, -v[192:193]
	v_add_f64 v[198:199], v[194:195], -v[198:199]
	v_add_f64 v[200:201], v[196:197], -v[200:201]
	ds_write_b128 v160, v[168:171]
	ds_write_b128 v160, v[172:175] offset:16
	v_accvgpr_read_b32 v160, a2
	v_fma_f64 v[194:195], v[194:195], 2.0, -v[198:199]
	v_fma_f64 v[196:197], v[196:197], 2.0, -v[200:201]
	v_add_f64 v[206:207], v[202:203], -v[206:207]
	v_add_f64 v[208:209], v[204:205], -v[208:209]
	;; [unrolled: 7-line block ×3, first 2 shown]
	ds_write_b128 v160, v[194:197]
	ds_write_b128 v160, v[198:201] offset:16
	v_accvgpr_read_b32 v160, a4
	v_fma_f64 v[210:211], v[210:211], 2.0, -v[214:215]
	v_fma_f64 v[212:213], v[212:213], 2.0, -v[216:217]
	ds_write_b128 v160, v[202:205]
	ds_write_b128 v160, v[206:209] offset:16
	v_accvgpr_read_b32 v160, a5
	ds_write_b128 v160, v[210:213]
	ds_write_b128 v160, v[214:217] offset:16
	s_waitcnt lgkmcnt(0)
	; wave barrier
	s_waitcnt lgkmcnt(0)
	ds_read_b128 v[160:163], v176
	ds_read_b128 v[164:167], v176 offset:5376
	ds_read_b128 v[168:171], v176 offset:896
	;; [unrolled: 1-line block ×11, first 2 shown]
	s_waitcnt lgkmcnt(10)
	v_mul_f64 v[218:219], v[50:51], v[166:167]
	v_fmac_f64_e32 v[218:219], v[48:49], v[164:165]
	v_mul_f64 v[164:165], v[50:51], v[164:165]
	v_fma_f64 v[164:165], v[48:49], v[166:167], -v[164:165]
	s_waitcnt lgkmcnt(8)
	v_mul_f64 v[166:167], v[50:51], v[174:175]
	v_fmac_f64_e32 v[166:167], v[48:49], v[172:173]
	v_mul_f64 v[172:173], v[50:51], v[172:173]
	v_fma_f64 v[172:173], v[48:49], v[174:175], -v[172:173]
	;; [unrolled: 5-line block ×5, first 2 shown]
	s_waitcnt lgkmcnt(0)
	v_mul_f64 v[208:209], v[50:51], v[216:217]
	v_mul_f64 v[50:51], v[50:51], v[214:215]
	v_fmac_f64_e32 v[208:209], v[48:49], v[214:215]
	v_fma_f64 v[214:215], v[48:49], v[216:217], -v[50:51]
	v_add_f64 v[48:49], v[160:161], -v[218:219]
	v_add_f64 v[50:51], v[162:163], -v[164:165]
	v_fma_f64 v[160:161], v[160:161], 2.0, -v[48:49]
	v_fma_f64 v[162:163], v[162:163], 2.0, -v[50:51]
	v_add_f64 v[164:165], v[168:169], -v[166:167]
	v_add_f64 v[166:167], v[170:171], -v[172:173]
	v_accvgpr_read_b32 v179, a6
	v_fma_f64 v[168:169], v[168:169], 2.0, -v[164:165]
	v_fma_f64 v[170:171], v[170:171], 2.0, -v[166:167]
	v_add_f64 v[172:173], v[186:187], -v[174:175]
	v_add_f64 v[174:175], v[188:189], -v[190:191]
	s_waitcnt lgkmcnt(0)
	; wave barrier
	ds_write_b128 v179, v[160:163]
	ds_write_b128 v179, v[48:51] offset:32
	v_accvgpr_read_b32 v48, a7
	v_fma_f64 v[186:187], v[186:187], 2.0, -v[172:173]
	v_fma_f64 v[188:189], v[188:189], 2.0, -v[174:175]
	v_add_f64 v[190:191], v[194:195], -v[192:193]
	v_add_f64 v[192:193], v[196:197], -v[198:199]
	ds_write_b128 v48, v[168:171]
	ds_write_b128 v48, v[164:167] offset:32
	v_accvgpr_read_b32 v48, a8
	v_fma_f64 v[194:195], v[194:195], 2.0, -v[190:191]
	v_fma_f64 v[196:197], v[196:197], 2.0, -v[192:193]
	v_add_f64 v[198:199], v[202:203], -v[200:201]
	v_add_f64 v[200:201], v[204:205], -v[206:207]
	;; [unrolled: 7-line block ×3, first 2 shown]
	ds_write_b128 v48, v[194:197]
	ds_write_b128 v48, v[190:193] offset:32
	v_accvgpr_read_b32 v48, a10
	v_fma_f64 v[210:211], v[210:211], 2.0, -v[206:207]
	v_fma_f64 v[212:213], v[212:213], 2.0, -v[208:209]
	ds_write_b128 v48, v[202:205]
	ds_write_b128 v48, v[198:201] offset:32
	v_accvgpr_read_b32 v48, a11
	ds_write_b128 v48, v[210:213]
	ds_write_b128 v48, v[206:209] offset:32
	s_waitcnt lgkmcnt(0)
	; wave barrier
	s_waitcnt lgkmcnt(0)
	ds_read_b128 v[48:51], v176
	ds_read_b128 v[160:163], v176 offset:5376
	ds_read_b128 v[164:167], v176 offset:896
	;; [unrolled: 1-line block ×11, first 2 shown]
	s_waitcnt lgkmcnt(10)
	v_mul_f64 v[214:215], v[54:55], v[162:163]
	v_fmac_f64_e32 v[214:215], v[52:53], v[160:161]
	v_mul_f64 v[160:161], v[54:55], v[160:161]
	v_fma_f64 v[160:161], v[52:53], v[162:163], -v[160:161]
	s_waitcnt lgkmcnt(8)
	v_mul_f64 v[162:163], v[54:55], v[170:171]
	v_fmac_f64_e32 v[162:163], v[52:53], v[168:169]
	v_mul_f64 v[168:169], v[54:55], v[168:169]
	v_fma_f64 v[168:169], v[52:53], v[170:171], -v[168:169]
	;; [unrolled: 5-line block ×5, first 2 shown]
	s_waitcnt lgkmcnt(0)
	v_mul_f64 v[204:205], v[54:55], v[212:213]
	v_mul_f64 v[54:55], v[54:55], v[210:211]
	v_fmac_f64_e32 v[204:205], v[52:53], v[210:211]
	v_fma_f64 v[210:211], v[52:53], v[212:213], -v[54:55]
	v_add_f64 v[52:53], v[48:49], -v[214:215]
	v_add_f64 v[54:55], v[50:51], -v[160:161]
	v_fma_f64 v[48:49], v[48:49], 2.0, -v[52:53]
	v_fma_f64 v[50:51], v[50:51], 2.0, -v[54:55]
	v_add_f64 v[160:161], v[164:165], -v[162:163]
	v_add_f64 v[162:163], v[166:167], -v[168:169]
	v_accvgpr_read_b32 v179, a12
	v_fma_f64 v[164:165], v[164:165], 2.0, -v[160:161]
	v_fma_f64 v[166:167], v[166:167], 2.0, -v[162:163]
	v_add_f64 v[168:169], v[172:173], -v[170:171]
	v_add_f64 v[170:171], v[174:175], -v[186:187]
	s_waitcnt lgkmcnt(0)
	; wave barrier
	ds_write_b128 v179, v[48:51]
	ds_write_b128 v179, v[52:55] offset:64
	v_accvgpr_read_b32 v48, a13
	v_fma_f64 v[172:173], v[172:173], 2.0, -v[168:169]
	v_fma_f64 v[174:175], v[174:175], 2.0, -v[170:171]
	v_add_f64 v[186:187], v[190:191], -v[188:189]
	v_add_f64 v[188:189], v[192:193], -v[194:195]
	ds_write_b128 v48, v[164:167]
	ds_write_b128 v48, v[160:163] offset:64
	v_accvgpr_read_b32 v48, a14
	v_fma_f64 v[190:191], v[190:191], 2.0, -v[186:187]
	v_fma_f64 v[192:193], v[192:193], 2.0, -v[188:189]
	v_add_f64 v[194:195], v[198:199], -v[196:197]
	v_add_f64 v[196:197], v[200:201], -v[202:203]
	;; [unrolled: 7-line block ×3, first 2 shown]
	ds_write_b128 v48, v[190:193]
	ds_write_b128 v48, v[186:189] offset:64
	v_accvgpr_read_b32 v48, a16
	v_fma_f64 v[206:207], v[206:207], 2.0, -v[202:203]
	v_fma_f64 v[208:209], v[208:209], 2.0, -v[204:205]
	ds_write_b128 v48, v[198:201]
	ds_write_b128 v48, v[194:197] offset:64
	v_accvgpr_read_b32 v48, a17
	ds_write_b128 v48, v[206:209]
	ds_write_b128 v48, v[202:205] offset:64
	s_waitcnt lgkmcnt(0)
	; wave barrier
	s_waitcnt lgkmcnt(0)
	ds_read_b128 v[48:51], v176
	ds_read_b128 v[52:55], v176 offset:5376
	ds_read_b128 v[160:163], v176 offset:896
	;; [unrolled: 1-line block ×11, first 2 shown]
	s_waitcnt lgkmcnt(10)
	v_mul_f64 v[210:211], v[58:59], v[54:55]
	v_fmac_f64_e32 v[210:211], v[56:57], v[52:53]
	v_mul_f64 v[52:53], v[58:59], v[52:53]
	v_fma_f64 v[54:55], v[56:57], v[54:55], -v[52:53]
	s_waitcnt lgkmcnt(8)
	v_mul_f64 v[212:213], v[58:59], v[166:167]
	v_mul_f64 v[52:53], v[58:59], v[164:165]
	v_fmac_f64_e32 v[212:213], v[56:57], v[164:165]
	v_fma_f64 v[164:165], v[56:57], v[166:167], -v[52:53]
	s_waitcnt lgkmcnt(6)
	v_mul_f64 v[166:167], v[58:59], v[174:175]
	v_mul_f64 v[52:53], v[58:59], v[172:173]
	v_fmac_f64_e32 v[166:167], v[56:57], v[172:173]
	;; [unrolled: 5-line block ×5, first 2 shown]
	v_fma_f64 v[206:207], v[56:57], v[208:209], -v[52:53]
	v_add_f64 v[52:53], v[48:49], -v[210:211]
	v_add_f64 v[54:55], v[50:51], -v[54:55]
	v_fma_f64 v[48:49], v[48:49], 2.0, -v[52:53]
	v_fma_f64 v[50:51], v[50:51], 2.0, -v[54:55]
	v_add_f64 v[56:57], v[160:161], -v[212:213]
	v_add_f64 v[58:59], v[162:163], -v[164:165]
	v_add_f64 v[164:165], v[168:169], -v[166:167]
	v_add_f64 v[166:167], v[170:171], -v[172:173]
	v_add_f64 v[172:173], v[186:187], -v[174:175]
	v_add_f64 v[174:175], v[188:189], -v[190:191]
	v_add_f64 v[190:191], v[194:195], -v[192:193]
	v_add_f64 v[192:193], v[196:197], -v[198:199]
	v_add_f64 v[198:199], v[202:203], -v[200:201]
	v_add_f64 v[200:201], v[204:205], -v[206:207]
	v_accvgpr_read_b32 v179, a18
	v_fma_f64 v[160:161], v[160:161], 2.0, -v[56:57]
	v_fma_f64 v[162:163], v[162:163], 2.0, -v[58:59]
	;; [unrolled: 1-line block ×10, first 2 shown]
	s_waitcnt lgkmcnt(0)
	; wave barrier
	ds_write_b128 v179, v[48:51]
	ds_write_b128 v179, v[52:55] offset:128
	v_accvgpr_read_b32 v48, a19
	ds_write_b128 v48, v[160:163]
	ds_write_b128 v48, v[56:59] offset:128
	ds_write_b128 v177, v[168:171]
	ds_write_b128 v177, v[164:167] offset:128
	;; [unrolled: 2-line block ×5, first 2 shown]
	s_waitcnt lgkmcnt(0)
	; wave barrier
	s_waitcnt lgkmcnt(0)
	ds_read_b128 v[48:51], v176
	ds_read_b128 v[52:55], v176 offset:5376
	ds_read_b128 v[56:59], v176 offset:896
	;; [unrolled: 1-line block ×11, first 2 shown]
	s_waitcnt lgkmcnt(10)
	v_mul_f64 v[206:207], v[62:63], v[54:55]
	v_fmac_f64_e32 v[206:207], v[60:61], v[52:53]
	v_mul_f64 v[52:53], v[62:63], v[52:53]
	v_fma_f64 v[54:55], v[60:61], v[54:55], -v[52:53]
	s_waitcnt lgkmcnt(8)
	v_mul_f64 v[52:53], v[66:67], v[160:161]
	v_mul_f64 v[208:209], v[66:67], v[162:163]
	v_fma_f64 v[66:67], v[182:183], v[162:163], -v[52:53]
	s_waitcnt lgkmcnt(6)
	v_mul_f64 v[52:53], v[62:63], v[168:169]
	v_fmac_f64_e32 v[208:209], v[182:183], v[160:161]
	v_mul_f64 v[160:161], v[62:63], v[170:171]
	v_fma_f64 v[162:163], v[60:61], v[170:171], -v[52:53]
	s_waitcnt lgkmcnt(4)
	v_mul_f64 v[52:53], v[70:71], v[186:187]
	v_fmac_f64_e32 v[160:161], v[60:61], v[168:169]
	;; [unrolled: 5-line block ×3, first 2 shown]
	v_mul_f64 v[182:183], v[62:63], v[196:197]
	v_fma_f64 v[186:187], v[60:61], v[196:197], -v[52:53]
	s_waitcnt lgkmcnt(0)
	v_mul_f64 v[188:189], v[184:185], v[204:205]
	v_mul_f64 v[52:53], v[184:185], v[202:203]
	v_fmac_f64_e32 v[182:183], v[60:61], v[194:195]
	v_fmac_f64_e32 v[188:189], v[64:65], v[202:203]
	v_fma_f64 v[184:185], v[64:65], v[204:205], -v[52:53]
	v_add_f64 v[52:53], v[48:49], -v[206:207]
	v_add_f64 v[54:55], v[50:51], -v[54:55]
	;; [unrolled: 1-line block ×12, first 2 shown]
	v_fma_f64 v[48:49], v[48:49], 2.0, -v[52:53]
	v_fma_f64 v[50:51], v[50:51], 2.0, -v[54:55]
	v_fma_f64 v[56:57], v[56:57], 2.0, -v[60:61]
	v_fma_f64 v[58:59], v[58:59], 2.0, -v[62:63]
	v_fma_f64 v[68:69], v[164:165], 2.0, -v[64:65]
	v_fma_f64 v[70:71], v[166:167], 2.0, -v[66:67]
	v_fma_f64 v[164:165], v[172:173], 2.0, -v[160:161]
	v_fma_f64 v[166:167], v[174:175], 2.0, -v[162:163]
	v_fma_f64 v[172:173], v[190:191], 2.0, -v[168:169]
	v_fma_f64 v[174:175], v[192:193], 2.0, -v[170:171]
	v_fma_f64 v[186:187], v[198:199], 2.0, -v[182:183]
	v_fma_f64 v[188:189], v[200:201], 2.0, -v[184:185]
	s_waitcnt lgkmcnt(0)
	; wave barrier
	ds_write_b128 v240, v[48:51]
	ds_write_b128 v240, v[52:55] offset:256
	ds_write_b128 v241, v[56:59]
	ds_write_b128 v241, v[60:63] offset:256
	ds_write_b128 v242, v[68:71]
	ds_write_b128 v242, v[64:67] offset:256
	ds_write_b128 v243, v[164:167]
	ds_write_b128 v243, v[160:163] offset:256
	ds_write_b128 v244, v[172:175]
	ds_write_b128 v244, v[168:171] offset:256
	ds_write_b128 v245, v[186:189]
	ds_write_b128 v245, v[182:185] offset:256
	s_waitcnt lgkmcnt(0)
	; wave barrier
	s_waitcnt lgkmcnt(0)
	ds_read_b128 v[68:71], v176
	ds_read_b128 v[56:59], v176 offset:3584
	ds_read_b128 v[60:63], v176 offset:7168
	;; [unrolled: 1-line block ×11, first 2 shown]
	s_waitcnt lgkmcnt(10)
	v_mul_f64 v[190:191], v[74:75], v[58:59]
	v_fmac_f64_e32 v[190:191], v[72:73], v[56:57]
	v_mul_f64 v[56:57], v[74:75], v[56:57]
	v_fma_f64 v[56:57], v[72:73], v[58:59], -v[56:57]
	s_waitcnt lgkmcnt(9)
	v_mul_f64 v[58:59], v[78:79], v[62:63]
	v_fmac_f64_e32 v[58:59], v[76:77], v[60:61]
	v_mul_f64 v[60:61], v[78:79], v[60:61]
	v_fma_f64 v[60:61], v[76:77], v[62:63], -v[60:61]
	s_waitcnt lgkmcnt(7)
	v_mul_f64 v[62:63], v[82:83], v[66:67]
	v_fmac_f64_e32 v[62:63], v[80:81], v[64:65]
	v_mul_f64 v[64:65], v[82:83], v[64:65]
	v_fma_f64 v[64:65], v[80:81], v[66:67], -v[64:65]
	s_waitcnt lgkmcnt(6)
	v_mul_f64 v[66:67], v[86:87], v[166:167]
	v_mul_f64 v[72:73], v[86:87], v[164:165]
	v_fmac_f64_e32 v[66:67], v[84:85], v[164:165]
	v_fma_f64 v[86:87], v[84:85], v[166:167], -v[72:73]
	s_waitcnt lgkmcnt(4)
	v_mul_f64 v[164:165], v[90:91], v[170:171]
	v_mul_f64 v[72:73], v[90:91], v[168:169]
	v_fmac_f64_e32 v[164:165], v[88:89], v[168:169]
	v_fma_f64 v[166:167], v[88:89], v[170:171], -v[72:73]
	;; [unrolled: 5-line block ×4, first 2 shown]
	s_waitcnt lgkmcnt(0)
	v_mul_f64 v[98:99], v[102:103], v[188:189]
	v_mul_f64 v[72:73], v[102:103], v[186:187]
	v_add_f64 v[74:75], v[190:191], v[58:59]
	v_fmac_f64_e32 v[98:99], v[100:101], v[186:187]
	v_fma_f64 v[100:101], v[100:101], v[188:189], -v[72:73]
	v_add_f64 v[72:73], v[68:69], v[190:191]
	v_fmac_f64_e32 v[68:69], -0.5, v[74:75]
	v_add_f64 v[74:75], v[56:57], -v[60:61]
	v_fma_f64 v[76:77], s[0:1], v[74:75], v[68:69]
	v_fmac_f64_e32 v[68:69], s[8:9], v[74:75]
	v_add_f64 v[74:75], v[70:71], v[56:57]
	v_add_f64 v[56:57], v[56:57], v[60:61]
	v_fmac_f64_e32 v[70:71], -0.5, v[56:57]
	v_add_f64 v[56:57], v[190:191], -v[58:59]
	v_fma_f64 v[78:79], s[8:9], v[56:57], v[70:71]
	v_fmac_f64_e32 v[70:71], s[0:1], v[56:57]
	v_add_f64 v[56:57], v[160:161], v[62:63]
	v_add_f64 v[80:81], v[56:57], v[66:67]
	v_add_f64 v[56:57], v[62:63], v[66:67]
	v_fmac_f64_e32 v[160:161], -0.5, v[56:57]
	v_add_f64 v[56:57], v[64:65], -v[86:87]
	v_fma_f64 v[84:85], s[0:1], v[56:57], v[160:161]
	v_fmac_f64_e32 v[160:161], s[8:9], v[56:57]
	v_add_f64 v[56:57], v[162:163], v[64:65]
	;; [unrolled: 7-line block ×3, first 2 shown]
	v_add_f64 v[88:89], v[56:57], v[168:169]
	v_add_f64 v[56:57], v[164:165], v[168:169]
	;; [unrolled: 1-line block ×3, first 2 shown]
	v_fmac_f64_e32 v[48:49], -0.5, v[56:57]
	v_add_f64 v[58:59], v[166:167], -v[92:93]
	v_fma_f64 v[56:57], s[0:1], v[58:59], v[48:49]
	v_fmac_f64_e32 v[48:49], s[8:9], v[58:59]
	v_add_f64 v[58:59], v[50:51], v[166:167]
	v_add_f64 v[90:91], v[58:59], v[92:93]
	;; [unrolled: 1-line block ×4, first 2 shown]
	v_fmac_f64_e32 v[50:51], -0.5, v[58:59]
	v_add_f64 v[60:61], v[164:165], -v[168:169]
	v_add_f64 v[62:63], v[94:95], v[98:99]
	v_fma_f64 v[58:59], s[8:9], v[60:61], v[50:51]
	v_fmac_f64_e32 v[50:51], s[0:1], v[60:61]
	v_add_f64 v[60:61], v[52:53], v[94:95]
	v_fmac_f64_e32 v[52:53], -0.5, v[62:63]
	v_add_f64 v[62:63], v[96:97], -v[100:101]
	v_add_f64 v[66:67], v[96:97], v[100:101]
	v_fma_f64 v[64:65], s[0:1], v[62:63], v[52:53]
	v_fmac_f64_e32 v[52:53], s[8:9], v[62:63]
	v_add_f64 v[62:63], v[54:55], v[96:97]
	v_fmac_f64_e32 v[54:55], -0.5, v[66:67]
	v_add_f64 v[92:93], v[94:95], -v[98:99]
	v_add_f64 v[60:61], v[60:61], v[98:99]
	v_add_f64 v[62:63], v[62:63], v[100:101]
	v_fma_f64 v[66:67], s[8:9], v[92:93], v[54:55]
	v_fmac_f64_e32 v[54:55], s[0:1], v[92:93]
	s_waitcnt lgkmcnt(0)
	; wave barrier
	ds_write_b128 v247, v[72:75]
	ds_write_b128 v247, v[76:79] offset:512
	ds_write_b128 v247, v[68:71] offset:1024
	ds_write_b128 v248, v[80:83]
	ds_write_b128 v248, v[84:87] offset:512
	ds_write_b128 v248, v[160:163] offset:1024
	;; [unrolled: 3-line block ×4, first 2 shown]
	s_waitcnt lgkmcnt(0)
	; wave barrier
	s_waitcnt lgkmcnt(0)
	ds_read_b128 v[68:71], v176
	ds_read_b128 v[92:95], v176 offset:1536
	ds_read_b128 v[88:91], v176 offset:3072
	;; [unrolled: 1-line block ×6, first 2 shown]
	s_and_saveexec_b64 s[0:1], vcc
	s_cbranch_execz .LBB0_7
; %bb.6:
	ds_read_b128 v[56:59], v176 offset:896
	ds_read_b128 v[48:51], v176 offset:2432
	;; [unrolled: 1-line block ×7, first 2 shown]
.LBB0_7:
	s_or_b64 exec, exec, s[0:1]
	s_waitcnt lgkmcnt(5)
	v_mul_f64 v[96:97], v[142:143], v[94:95]
	v_fmac_f64_e32 v[96:97], v[140:141], v[92:93]
	v_mul_f64 v[92:93], v[142:143], v[92:93]
	v_fma_f64 v[92:93], v[140:141], v[94:95], -v[92:93]
	s_waitcnt lgkmcnt(4)
	v_mul_f64 v[94:95], v[134:135], v[90:91]
	v_fmac_f64_e32 v[94:95], v[132:133], v[88:89]
	v_mul_f64 v[88:89], v[134:135], v[88:89]
	v_fma_f64 v[88:89], v[132:133], v[90:91], -v[88:89]
	;; [unrolled: 5-line block ×6, first 2 shown]
	v_add_f64 v[74:75], v[96:97], v[78:79]
	v_add_f64 v[98:99], v[92:93], v[72:73]
	v_add_f64 v[72:73], v[92:93], -v[72:73]
	v_add_f64 v[92:93], v[94:95], v[82:83]
	v_add_f64 v[78:79], v[96:97], -v[78:79]
	;; [unrolled: 2-line block ×3, first 2 shown]
	v_add_f64 v[76:77], v[88:89], -v[76:77]
	v_add_f64 v[88:89], v[90:91], v[86:87]
	v_add_f64 v[94:95], v[84:85], v[80:81]
	v_add_f64 v[80:81], v[80:81], -v[84:85]
	v_add_f64 v[84:85], v[92:93], v[74:75]
	v_add_f64 v[86:87], v[86:87], -v[90:91]
	v_add_f64 v[90:91], v[96:97], v[98:99]
	v_add_f64 v[84:85], v[88:89], v[84:85]
	v_add_f64 v[100:101], v[92:93], -v[74:75]
	v_add_f64 v[74:75], v[74:75], -v[88:89]
	;; [unrolled: 1-line block ×3, first 2 shown]
	v_add_f64 v[88:89], v[94:95], v[90:91]
	v_add_f64 v[68:69], v[68:69], v[84:85]
	s_mov_b32 s10, 0x37e14327
	s_mov_b32 s12, 0x36b3c0b5
	;; [unrolled: 1-line block ×5, first 2 shown]
	v_add_f64 v[102:103], v[96:97], -v[98:99]
	v_add_f64 v[98:99], v[98:99], -v[94:95]
	;; [unrolled: 1-line block ×3, first 2 shown]
	v_add_f64 v[124:125], v[86:87], v[82:83]
	v_add_f64 v[126:127], v[80:81], v[76:77]
	v_add_f64 v[128:129], v[86:87], -v[82:83]
	v_add_f64 v[130:131], v[80:81], -v[76:77]
	;; [unrolled: 1-line block ×4, first 2 shown]
	v_add_f64 v[70:71], v[70:71], v[88:89]
	s_mov_b32 s11, 0x3fe948f6
	s_mov_b32 s13, 0x3fac98ee
	;; [unrolled: 1-line block ×5, first 2 shown]
	v_mov_b64_e32 v[132:133], v[68:69]
	s_mov_b32 s8, 0x5476071b
	s_mov_b32 s24, 0xb247c609
	v_add_f64 v[86:87], v[78:79], -v[86:87]
	v_add_f64 v[80:81], v[72:73], -v[80:81]
	v_add_f64 v[78:79], v[124:125], v[78:79]
	v_add_f64 v[72:73], v[126:127], v[72:73]
	v_mul_f64 v[74:75], v[74:75], s[10:11]
	v_mul_f64 v[90:91], v[98:99], s[10:11]
	;; [unrolled: 1-line block ×8, first 2 shown]
	v_fmac_f64_e32 v[132:133], s[22:23], v[84:85]
	v_mov_b64_e32 v[84:85], v[70:71]
	s_mov_b32 s9, 0x3fe77f67
	s_mov_b32 s17, 0xbfe77f67
	;; [unrolled: 1-line block ×7, first 2 shown]
	v_fmac_f64_e32 v[84:85], s[22:23], v[88:89]
	v_fma_f64 v[88:89], v[100:101], s[8:9], -v[94:95]
	v_fma_f64 v[94:95], v[102:103], s[8:9], -v[98:99]
	;; [unrolled: 1-line block ×3, first 2 shown]
	v_fmac_f64_e32 v[74:75], s[12:13], v[92:93]
	v_fma_f64 v[92:93], v[102:103], s[16:17], -v[90:91]
	v_fmac_f64_e32 v[90:91], s[12:13], v[96:97]
	v_fma_f64 v[96:97], v[82:83], s[0:1], -v[124:125]
	;; [unrolled: 2-line block ×4, first 2 shown]
	v_fma_f64 v[128:129], v[80:81], s[20:21], -v[130:131]
	s_mov_b32 s19, 0xbfdc38aa
	v_add_f64 v[130:131], v[74:75], v[132:133]
	v_add_f64 v[134:135], v[90:91], v[84:85]
	;; [unrolled: 1-line block ×6, first 2 shown]
	v_fmac_f64_e32 v[124:125], s[18:19], v[78:79]
	v_fmac_f64_e32 v[126:127], s[18:19], v[72:73]
	;; [unrolled: 1-line block ×6, first 2 shown]
	v_add_f64 v[72:73], v[126:127], v[130:131]
	v_add_f64 v[74:75], v[134:135], -v[124:125]
	v_add_f64 v[76:77], v[128:129], v[90:91]
	v_add_f64 v[78:79], v[92:93], -v[102:103]
	v_add_f64 v[80:81], v[86:87], -v[100:101]
	v_add_f64 v[82:83], v[96:97], v[88:89]
	v_add_f64 v[84:85], v[100:101], v[86:87]
	v_add_f64 v[86:87], v[88:89], -v[96:97]
	v_add_f64 v[88:89], v[90:91], -v[128:129]
	v_add_f64 v[90:91], v[102:103], v[92:93]
	v_add_f64 v[92:93], v[130:131], -v[126:127]
	v_add_f64 v[94:95], v[124:125], v[134:135]
	ds_write_b128 v176, v[68:71]
	ds_write_b128 v176, v[72:75] offset:1536
	ds_write_b128 v176, v[76:79] offset:3072
	;; [unrolled: 1-line block ×6, first 2 shown]
	s_and_saveexec_b64 s[26:27], vcc
	s_cbranch_execz .LBB0_9
; %bb.8:
	v_mul_f64 v[68:69], v[118:119], v[50:51]
	v_fmac_f64_e32 v[68:69], v[116:117], v[48:49]
	v_mul_f64 v[48:49], v[118:119], v[48:49]
	v_fma_f64 v[94:95], v[116:117], v[50:51], -v[48:49]
	v_mul_f64 v[48:49], v[146:147], v[152:153]
	v_mul_f64 v[76:77], v[110:111], v[66:67]
	;; [unrolled: 1-line block ×4, first 2 shown]
	v_fma_f64 v[98:99], v[144:145], v[154:155], -v[48:49]
	v_mul_f64 v[48:49], v[114:115], v[60:61]
	v_mul_f64 v[50:51], v[110:111], v[64:65]
	;; [unrolled: 1-line block ×3, first 2 shown]
	v_fmac_f64_e32 v[76:77], v[108:109], v[64:65]
	v_fmac_f64_e32 v[82:83], v[112:113], v[60:61]
	v_fma_f64 v[92:93], v[120:121], v[158:159], -v[92:93]
	v_fma_f64 v[60:61], v[112:113], v[62:63], -v[48:49]
	;; [unrolled: 1-line block ×3, first 2 shown]
	v_mul_f64 v[50:51], v[106:107], v[52:53]
	v_fmac_f64_e32 v[74:75], v[104:105], v[52:53]
	v_add_f64 v[96:97], v[94:95], v[92:93]
	v_add_f64 v[62:63], v[60:61], v[98:99]
	v_fma_f64 v[52:53], v[104:105], v[54:55], -v[50:51]
	v_add_f64 v[48:49], v[62:63], v[96:97]
	v_add_f64 v[54:55], v[64:65], v[52:53]
	;; [unrolled: 1-line block ×4, first 2 shown]
	v_mov_b64_e32 v[66:67], v[50:51]
	v_mul_f64 v[70:71], v[122:123], v[158:159]
	v_mul_f64 v[84:85], v[146:147], v[154:155]
	v_fmac_f64_e32 v[66:67], s[22:23], v[48:49]
	v_add_f64 v[48:49], v[96:97], -v[54:55]
	v_fmac_f64_e32 v[70:71], v[120:121], v[156:157]
	v_fmac_f64_e32 v[84:85], v[144:145], v[152:153]
	v_mul_f64 v[58:59], v[48:49], s[10:11]
	v_add_f64 v[48:49], v[54:55], -v[62:63]
	v_add_f64 v[72:73], v[68:69], -v[70:71]
	v_mul_f64 v[100:101], v[48:49], s[12:13]
	v_fma_f64 v[48:49], s[12:13], v[48:49], v[58:59]
	v_add_f64 v[68:69], v[68:69], v[70:71]
	v_add_f64 v[70:71], v[82:83], v[84:85]
	v_add_f64 v[78:79], v[74:75], -v[76:77]
	v_add_f64 v[102:103], v[48:49], v[66:67]
	v_add_f64 v[48:49], v[70:71], v[68:69]
	;; [unrolled: 1-line block ×5, first 2 shown]
	v_add_f64 v[56:57], v[68:69], -v[74:75]
	v_add_f64 v[86:87], v[82:83], -v[84:85]
	v_mov_b64_e32 v[82:83], v[48:49]
	v_mul_f64 v[56:57], v[56:57], s[10:11]
	v_add_f64 v[74:75], v[74:75], -v[70:71]
	v_fmac_f64_e32 v[82:83], s[22:23], v[76:77]
	v_mul_f64 v[76:77], v[74:75], s[12:13]
	v_fma_f64 v[74:75], s[12:13], v[74:75], v[56:57]
	v_add_f64 v[80:81], v[72:73], -v[78:79]
	v_add_f64 v[88:89], v[78:79], -v[86:87]
	v_add_f64 v[78:79], v[78:79], v[86:87]
	v_add_f64 v[84:85], v[74:75], v[82:83]
	v_add_f64 v[74:75], v[94:95], -v[92:93]
	v_add_f64 v[52:53], v[52:53], -v[64:65]
	;; [unrolled: 1-line block ×4, first 2 shown]
	v_add_f64 v[78:79], v[78:79], v[72:73]
	v_add_f64 v[64:65], v[74:75], -v[52:53]
	v_add_f64 v[92:93], v[52:53], -v[60:61]
	v_add_f64 v[52:53], v[52:53], v[60:61]
	v_add_f64 v[72:73], v[86:87], -v[72:73]
	v_add_f64 v[62:63], v[62:63], -v[96:97]
	v_fma_f64 v[56:57], v[68:69], s[16:17], -v[56:57]
	v_add_f64 v[60:61], v[60:61], -v[74:75]
	v_mul_f64 v[88:89], v[88:89], s[14:15]
	v_mul_f64 v[92:93], v[92:93], s[14:15]
	;; [unrolled: 1-line block ×3, first 2 shown]
	v_fma_f64 v[58:59], v[62:63], s[16:17], -v[58:59]
	v_add_f64 v[96:97], v[56:57], v[82:83]
	v_mul_f64 v[56:57], v[60:61], s[0:1]
	v_fma_f64 v[62:63], v[62:63], s[8:9], -v[100:101]
	v_fma_f64 v[90:91], s[24:25], v[80:81], v[88:89]
	v_fma_f64 v[94:95], s[24:25], v[64:65], v[92:93]
	v_add_f64 v[98:99], v[52:53], v[74:75]
	v_fma_f64 v[80:81], v[80:81], s[20:21], -v[86:87]
	v_add_f64 v[86:87], v[58:59], v[66:67]
	v_fma_f64 v[74:75], v[64:65], s[20:21], -v[56:57]
	;; [unrolled: 2-line block ×3, first 2 shown]
	v_fma_f64 v[68:69], v[68:69], s[8:9], -v[76:77]
	v_fma_f64 v[70:71], v[60:61], s[0:1], -v[92:93]
	v_fmac_f64_e32 v[90:91], s[18:19], v[78:79]
	v_fmac_f64_e32 v[94:95], s[18:19], v[98:99]
	;; [unrolled: 1-line block ×5, first 2 shown]
	v_add_f64 v[68:69], v[68:69], v[82:83]
	v_fmac_f64_e32 v[70:71], s[18:19], v[98:99]
	v_add_f64 v[54:55], v[90:91], v[102:103]
	v_add_f64 v[52:53], v[84:85], -v[94:95]
	v_add_f64 v[58:59], v[80:81], v[86:87]
	v_add_f64 v[56:57], v[96:97], -v[74:75]
	v_add_f64 v[62:63], v[64:65], -v[66:67]
	v_add_f64 v[60:61], v[70:71], v[68:69]
	v_add_f64 v[66:67], v[66:67], v[64:65]
	v_add_f64 v[64:65], v[68:69], -v[70:71]
	v_add_f64 v[70:71], v[86:87], -v[80:81]
	v_add_f64 v[68:69], v[74:75], v[96:97]
	v_add_f64 v[74:75], v[102:103], -v[90:91]
	v_add_f64 v[72:73], v[94:95], v[84:85]
	ds_write_b128 v176, v[48:51] offset:896
	ds_write_b128 v176, v[72:75] offset:2432
	;; [unrolled: 1-line block ×7, first 2 shown]
.LBB0_9:
	s_or_b64 exec, exec, s[26:27]
	s_waitcnt lgkmcnt(0)
	; wave barrier
	s_waitcnt lgkmcnt(0)
	ds_read_b128 v[48:51], v176
	v_mad_u64_u32 v[62:63], s[0:1], s6, v180, 0
	v_mov_b32_e32 v52, v63
	v_mad_u64_u32 v[52:53], s[0:1], s7, v180, v[52:53]
	v_mov_b32_e32 v63, v52
	ds_read_b128 v[52:55], v176 offset:896
	s_waitcnt lgkmcnt(1)
	v_mul_f64 v[56:57], v[46:47], v[50:51]
	s_mov_b32 s0, 0x18618618
	v_mul_f64 v[46:47], v[46:47], v[48:49]
	v_mov_b32_e32 v60, s2
	v_mov_b32_e32 v61, s3
	v_fmac_f64_e32 v[56:57], v[44:45], v[48:49]
	s_mov_b32 s1, 0x3f586186
	v_fma_f64 v[44:45], v[44:45], v[50:51], -v[46:47]
	v_mad_u64_u32 v[48:49], s[2:3], s4, v178, 0
	v_mul_f64 v[58:59], v[44:45], s[0:1]
	v_mov_b32_e32 v44, v49
	v_mad_u64_u32 v[44:45], s[2:3], s5, v178, v[44:45]
	v_mov_b32_e32 v49, v44
	ds_read_b128 v[44:47], v176 offset:5376
	v_lshl_add_u64 v[60:61], v[62:63], 4, v[60:61]
	v_mul_f64 v[56:57], v[56:57], s[0:1]
	v_lshl_add_u64 v[62:63], v[48:49], 4, v[60:61]
	ds_read_b128 v[48:51], v176 offset:6272
	global_store_dwordx4 v[62:63], v[56:59], off
	s_waitcnt lgkmcnt(1)
	s_nop 0
	v_mul_f64 v[56:57], v[2:3], v[46:47]
	v_mul_f64 v[2:3], v[2:3], v[44:45]
	v_fmac_f64_e32 v[56:57], v[0:1], v[44:45]
	v_fma_f64 v[0:1], v[0:1], v[46:47], -v[2:3]
	v_mov_b32_e32 v46, 0x1500
	v_mad_u64_u32 v[44:45], s[2:3], s4, v46, v[62:63]
	s_mul_i32 s2, s5, 0x1500
	v_mul_f64 v[56:57], v[56:57], s[0:1]
	v_mul_f64 v[58:59], v[0:1], s[0:1]
	v_add_u32_e32 v45, s2, v45
	v_mul_f64 v[0:1], v[26:27], v[54:55]
	v_mul_f64 v[2:3], v[26:27], v[52:53]
	v_mov_b32_e32 v47, 0xffffee80
	s_mul_i32 s3, s5, 0xffffee80
	global_store_dwordx4 v[44:45], v[56:59], off
	v_fmac_f64_e32 v[0:1], v[24:25], v[52:53]
	v_fma_f64 v[2:3], v[24:25], v[54:55], -v[2:3]
	v_mad_u64_u32 v[44:45], s[6:7], s4, v47, v[44:45]
	s_sub_i32 s3, s3, s4
	ds_read_b128 v[24:27], v176 offset:1792
	v_mul_f64 v[0:1], v[0:1], s[0:1]
	v_mul_f64 v[2:3], v[2:3], s[0:1]
	v_add_u32_e32 v45, s3, v45
	global_store_dwordx4 v[44:45], v[0:3], off
	v_mad_u64_u32 v[44:45], s[6:7], s4, v46, v[44:45]
	s_waitcnt lgkmcnt(1)
	v_mul_f64 v[0:1], v[42:43], v[50:51]
	v_mul_f64 v[2:3], v[42:43], v[48:49]
	v_fmac_f64_e32 v[0:1], v[40:41], v[48:49]
	v_fma_f64 v[2:3], v[40:41], v[50:51], -v[2:3]
	v_mul_f64 v[0:1], v[0:1], s[0:1]
	v_mul_f64 v[2:3], v[2:3], s[0:1]
	v_add_u32_e32 v45, s2, v45
	global_store_dwordx4 v[44:45], v[0:3], off
	ds_read_b128 v[0:3], v176 offset:2688
	s_waitcnt lgkmcnt(1)
	v_mul_f64 v[40:41], v[38:39], v[26:27]
	v_fmac_f64_e32 v[40:41], v[36:37], v[24:25]
	v_mul_f64 v[24:25], v[38:39], v[24:25]
	v_fma_f64 v[24:25], v[36:37], v[26:27], -v[24:25]
	v_mul_f64 v[42:43], v[24:25], s[0:1]
	ds_read_b128 v[24:27], v176 offset:7168
	ds_read_b128 v[36:39], v176 offset:8064
	v_mad_u64_u32 v[44:45], s[6:7], s4, v47, v[44:45]
	v_mul_f64 v[40:41], v[40:41], s[0:1]
	v_add_u32_e32 v45, s3, v45
	global_store_dwordx4 v[44:45], v[40:43], off
	s_waitcnt lgkmcnt(1)
	s_nop 0
	v_mul_f64 v[40:41], v[14:15], v[26:27]
	v_mul_f64 v[14:15], v[14:15], v[24:25]
	v_fmac_f64_e32 v[40:41], v[12:13], v[24:25]
	v_fma_f64 v[12:13], v[12:13], v[26:27], -v[14:15]
	v_accvgpr_read_b32 v15, a0
	v_mul_f64 v[42:43], v[12:13], s[0:1]
	v_mad_u64_u32 v[12:13], s[6:7], s4, v15, 0
	v_mov_b32_e32 v14, v13
	v_mad_u64_u32 v[14:15], s[6:7], s5, v15, v[14:15]
	v_mov_b32_e32 v13, v14
	v_mul_f64 v[40:41], v[40:41], s[0:1]
	v_lshl_add_u64 v[12:13], v[12:13], 4, v[60:61]
	global_store_dwordx4 v[12:13], v[40:43], off
	v_mul_f64 v[12:13], v[22:23], v[2:3]
	v_fmac_f64_e32 v[12:13], v[20:21], v[0:1]
	v_mul_f64 v[0:1], v[22:23], v[0:1]
	v_fma_f64 v[0:1], v[20:21], v[2:3], -v[0:1]
	v_mul_f64 v[14:15], v[0:1], s[0:1]
	v_mov_b32_e32 v0, 0x380
	v_mad_u64_u32 v[20:21], s[6:7], s4, v0, v[44:45]
	s_mulk_i32 s5, 0x380
	v_mul_f64 v[12:13], v[12:13], s[0:1]
	v_add_u32_e32 v21, s5, v21
	global_store_dwordx4 v[20:21], v[12:15], off
	ds_read_b128 v[12:15], v176 offset:3584
	s_waitcnt lgkmcnt(1)
	v_mul_f64 v[0:1], v[34:35], v[38:39]
	v_mul_f64 v[2:3], v[34:35], v[36:37]
	v_fmac_f64_e32 v[0:1], v[32:33], v[36:37]
	v_fma_f64 v[2:3], v[32:33], v[38:39], -v[2:3]
	v_mad_u64_u32 v[24:25], s[6:7], s4, v46, v[20:21]
	v_mul_f64 v[0:1], v[0:1], s[0:1]
	v_mul_f64 v[2:3], v[2:3], s[0:1]
	v_add_u32_e32 v25, s2, v25
	global_store_dwordx4 v[24:25], v[0:3], off
	ds_read_b128 v[0:3], v176 offset:4480
	s_waitcnt lgkmcnt(1)
	v_mul_f64 v[20:21], v[6:7], v[14:15]
	v_mul_f64 v[6:7], v[6:7], v[12:13]
	v_fmac_f64_e32 v[20:21], v[4:5], v[12:13]
	v_fma_f64 v[4:5], v[4:5], v[14:15], -v[6:7]
	v_mul_f64 v[22:23], v[4:5], s[0:1]
	ds_read_b128 v[4:7], v176 offset:8960
	ds_read_b128 v[12:15], v176 offset:9856
	v_mad_u64_u32 v[24:25], s[6:7], s4, v47, v[24:25]
	v_mul_f64 v[20:21], v[20:21], s[0:1]
	v_add_u32_e32 v25, s3, v25
	global_store_dwordx4 v[24:25], v[20:23], off
	s_waitcnt lgkmcnt(1)
	s_nop 0
	v_mul_f64 v[20:21], v[10:11], v[6:7]
	v_fmac_f64_e32 v[20:21], v[8:9], v[4:5]
	v_mul_f64 v[4:5], v[10:11], v[4:5]
	v_fma_f64 v[4:5], v[8:9], v[6:7], -v[4:5]
	v_mul_f64 v[22:23], v[4:5], s[0:1]
	v_mul_f64 v[4:5], v[18:19], v[2:3]
	v_mad_u64_u32 v[8:9], s[6:7], s4, v46, v[24:25]
	v_fmac_f64_e32 v[4:5], v[16:17], v[0:1]
	v_mul_f64 v[0:1], v[18:19], v[0:1]
	v_mul_f64 v[20:21], v[20:21], s[0:1]
	v_add_u32_e32 v9, s2, v9
	v_fma_f64 v[0:1], v[16:17], v[2:3], -v[0:1]
	global_store_dwordx4 v[8:9], v[20:23], off
	v_mul_f64 v[6:7], v[0:1], s[0:1]
	v_mad_u64_u32 v[8:9], s[6:7], s4, v47, v[8:9]
	s_waitcnt lgkmcnt(0)
	v_mul_f64 v[0:1], v[30:31], v[14:15]
	v_mul_f64 v[2:3], v[30:31], v[12:13]
	;; [unrolled: 1-line block ×3, first 2 shown]
	v_add_u32_e32 v9, s3, v9
	v_fmac_f64_e32 v[0:1], v[28:29], v[12:13]
	v_fma_f64 v[2:3], v[28:29], v[14:15], -v[2:3]
	global_store_dwordx4 v[8:9], v[4:7], off
	v_mul_f64 v[0:1], v[0:1], s[0:1]
	v_mul_f64 v[2:3], v[2:3], s[0:1]
	v_mad_u64_u32 v[4:5], s[0:1], s4, v46, v[8:9]
	v_add_u32_e32 v5, s2, v5
	global_store_dwordx4 v[4:5], v[0:3], off
.LBB0_10:
	s_endpgm
	.section	.rodata,"a",@progbits
	.p2align	6, 0x0
	.amdhsa_kernel bluestein_single_back_len672_dim1_dp_op_CI_CI
		.amdhsa_group_segment_fixed_size 10752
		.amdhsa_private_segment_fixed_size 0
		.amdhsa_kernarg_size 104
		.amdhsa_user_sgpr_count 2
		.amdhsa_user_sgpr_dispatch_ptr 0
		.amdhsa_user_sgpr_queue_ptr 0
		.amdhsa_user_sgpr_kernarg_segment_ptr 1
		.amdhsa_user_sgpr_dispatch_id 0
		.amdhsa_user_sgpr_kernarg_preload_length 0
		.amdhsa_user_sgpr_kernarg_preload_offset 0
		.amdhsa_user_sgpr_private_segment_size 0
		.amdhsa_uses_dynamic_stack 0
		.amdhsa_enable_private_segment 0
		.amdhsa_system_sgpr_workgroup_id_x 1
		.amdhsa_system_sgpr_workgroup_id_y 0
		.amdhsa_system_sgpr_workgroup_id_z 0
		.amdhsa_system_sgpr_workgroup_info 0
		.amdhsa_system_vgpr_workitem_id 0
		.amdhsa_next_free_vgpr 277
		.amdhsa_next_free_sgpr 28
		.amdhsa_accum_offset 256
		.amdhsa_reserve_vcc 1
		.amdhsa_float_round_mode_32 0
		.amdhsa_float_round_mode_16_64 0
		.amdhsa_float_denorm_mode_32 3
		.amdhsa_float_denorm_mode_16_64 3
		.amdhsa_dx10_clamp 1
		.amdhsa_ieee_mode 1
		.amdhsa_fp16_overflow 0
		.amdhsa_tg_split 0
		.amdhsa_exception_fp_ieee_invalid_op 0
		.amdhsa_exception_fp_denorm_src 0
		.amdhsa_exception_fp_ieee_div_zero 0
		.amdhsa_exception_fp_ieee_overflow 0
		.amdhsa_exception_fp_ieee_underflow 0
		.amdhsa_exception_fp_ieee_inexact 0
		.amdhsa_exception_int_div_zero 0
	.end_amdhsa_kernel
	.text
.Lfunc_end0:
	.size	bluestein_single_back_len672_dim1_dp_op_CI_CI, .Lfunc_end0-bluestein_single_back_len672_dim1_dp_op_CI_CI
                                        ; -- End function
	.section	.AMDGPU.csdata,"",@progbits
; Kernel info:
; codeLenInByte = 15516
; NumSgprs: 34
; NumVgprs: 256
; NumAgprs: 21
; TotalNumVgprs: 277
; ScratchSize: 0
; MemoryBound: 0
; FloatMode: 240
; IeeeMode: 1
; LDSByteSize: 10752 bytes/workgroup (compile time only)
; SGPRBlocks: 4
; VGPRBlocks: 34
; NumSGPRsForWavesPerEU: 34
; NumVGPRsForWavesPerEU: 277
; AccumOffset: 256
; Occupancy: 1
; WaveLimiterHint : 1
; COMPUTE_PGM_RSRC2:SCRATCH_EN: 0
; COMPUTE_PGM_RSRC2:USER_SGPR: 2
; COMPUTE_PGM_RSRC2:TRAP_HANDLER: 0
; COMPUTE_PGM_RSRC2:TGID_X_EN: 1
; COMPUTE_PGM_RSRC2:TGID_Y_EN: 0
; COMPUTE_PGM_RSRC2:TGID_Z_EN: 0
; COMPUTE_PGM_RSRC2:TIDIG_COMP_CNT: 0
; COMPUTE_PGM_RSRC3_GFX90A:ACCUM_OFFSET: 63
; COMPUTE_PGM_RSRC3_GFX90A:TG_SPLIT: 0
	.text
	.p2alignl 6, 3212836864
	.fill 256, 4, 3212836864
	.type	__hip_cuid_d4c21158e43690ce,@object ; @__hip_cuid_d4c21158e43690ce
	.section	.bss,"aw",@nobits
	.globl	__hip_cuid_d4c21158e43690ce
__hip_cuid_d4c21158e43690ce:
	.byte	0                               ; 0x0
	.size	__hip_cuid_d4c21158e43690ce, 1

	.ident	"AMD clang version 19.0.0git (https://github.com/RadeonOpenCompute/llvm-project roc-6.4.0 25133 c7fe45cf4b819c5991fe208aaa96edf142730f1d)"
	.section	".note.GNU-stack","",@progbits
	.addrsig
	.addrsig_sym __hip_cuid_d4c21158e43690ce
	.amdgpu_metadata
---
amdhsa.kernels:
  - .agpr_count:     21
    .args:
      - .actual_access:  read_only
        .address_space:  global
        .offset:         0
        .size:           8
        .value_kind:     global_buffer
      - .actual_access:  read_only
        .address_space:  global
        .offset:         8
        .size:           8
        .value_kind:     global_buffer
      - .actual_access:  read_only
        .address_space:  global
        .offset:         16
        .size:           8
        .value_kind:     global_buffer
      - .actual_access:  read_only
        .address_space:  global
        .offset:         24
        .size:           8
        .value_kind:     global_buffer
      - .actual_access:  read_only
        .address_space:  global
        .offset:         32
        .size:           8
        .value_kind:     global_buffer
      - .offset:         40
        .size:           8
        .value_kind:     by_value
      - .address_space:  global
        .offset:         48
        .size:           8
        .value_kind:     global_buffer
      - .address_space:  global
        .offset:         56
        .size:           8
        .value_kind:     global_buffer
      - .address_space:  global
        .offset:         64
        .size:           8
        .value_kind:     global_buffer
      - .address_space:  global
        .offset:         72
        .size:           8
        .value_kind:     global_buffer
      - .offset:         80
        .size:           4
        .value_kind:     by_value
      - .address_space:  global
        .offset:         88
        .size:           8
        .value_kind:     global_buffer
      - .address_space:  global
        .offset:         96
        .size:           8
        .value_kind:     global_buffer
    .group_segment_fixed_size: 10752
    .kernarg_segment_align: 8
    .kernarg_segment_size: 104
    .language:       OpenCL C
    .language_version:
      - 2
      - 0
    .max_flat_workgroup_size: 56
    .name:           bluestein_single_back_len672_dim1_dp_op_CI_CI
    .private_segment_fixed_size: 0
    .sgpr_count:     34
    .sgpr_spill_count: 0
    .symbol:         bluestein_single_back_len672_dim1_dp_op_CI_CI.kd
    .uniform_work_group_size: 1
    .uses_dynamic_stack: false
    .vgpr_count:     277
    .vgpr_spill_count: 0
    .wavefront_size: 64
amdhsa.target:   amdgcn-amd-amdhsa--gfx950
amdhsa.version:
  - 1
  - 2
...

	.end_amdgpu_metadata
